;; amdgpu-corpus repo=ROCm/aiter kind=harvested arch=n/a opt=n/a

/root/src/amdgpu-assembly/repos/ROCm__aiter/hsa/gfx942/fmoe_2stages/fmoe_stage1_bf16_pertokenFp8_blockscale_g1u1_32x256_2tg_pf3.co:	file format elf64-amdgpu

Disassembly of section .text:

0000000000002a00 <_ZN5aiter59fmoe_stage1_bf16_pertokenFp8_blockscale_g1u1_32x256_2tg_pf3E>:
	s_and_b32 s1, s1, 0xffff                                   // 000000002A00: 8601FF01 0000FFFF
	s_load_dwordx2 s[8:9], s[0:1], 0x0                         // 000000002A08: C0060200 00000000
	s_load_dwordx2 s[20:21], s[0:1], 0x10                      // 000000002A10: C0060500 00000010
	s_load_dwordx2 s[24:25], s[0:1], 0x20                      // 000000002A18: C0060600 00000020
	s_load_dwordx2 s[48:49], s[0:1], 0x30                      // 000000002A20: C0060C00 00000030
	s_load_dwordx2 s[28:29], s[0:1], 0x40                      // 000000002A28: C0060700 00000040
	s_load_dwordx2 s[32:33], s[0:1], 0x50                      // 000000002A30: C0060800 00000050
	s_load_dwordx2 s[36:37], s[0:1], 0x60                      // 000000002A38: C0060900 00000060
	s_load_dwordx2 s[12:13], s[0:1], 0x70                      // 000000002A40: C0060300 00000070
	s_load_dwordx2 s[44:45], s[0:1], 0x80                      // 000000002A48: C0060B00 00000080
	s_mov_b32 s89, 0                                           // 000000002A50: BED90080
	s_load_dword s64, s[0:1], 0x90                             // 000000002A54: C0021000 00000090
	s_load_dword s65, s[0:1], 0xa0                             // 000000002A5C: C0021040 000000A0
	s_load_dword s66, s[0:1], 0xb0                             // 000000002A64: C0021080 000000B0
	s_load_dword s67, s[0:1], 0xc0                             // 000000002A6C: C00210C0 000000C0
	s_load_dword s68, s[0:1], 0xd0                             // 000000002A74: C0021100 000000D0
	s_load_dword s69, s[0:1], 0xe0                             // 000000002A7C: C0021140 000000E0
	s_load_dword s71, s[0:1], 0xf0                             // 000000002A84: C00211C0 000000F0
	s_load_dword s72, s[0:1], 0x100                            // 000000002A8C: C0021200 00000100
	s_load_dword s74, s[0:1], 0x110                            // 000000002A94: C0021280 00000110
	s_load_dword s76, s[0:1], 0x120                            // 000000002A9C: C0021300 00000120
	s_load_dword s56, s[0:1], 0x130                            // 000000002AA4: C0020E00 00000130
	s_load_dword s88, s[0:1], 0x140                            // 000000002AAC: C0021600 00000140
	s_load_dword s89, s[0:1], 0x150                            // 000000002AB4: C0021640 00000150
	v_lshrrev_b32_e32 v1, 10, v0                               // 000000002ABC: 2002008A
	v_lshrrev_b32_e32 v2, 10, v1                               // 000000002AC0: 2004028A
	v_and_b32_e32 v2, 0x3ff, v2                                // 000000002AC4: 260404FF 000003FF
	v_and_b32_e32 v1, 0x3ff, v1                                // 000000002ACC: 260202FF 000003FF
	v_and_b32_e32 v0, 0x3ff, v0                                // 000000002AD4: 260000FF 000003FF
	v_lshrrev_b32_e32 v3, 6, v0                                // 000000002ADC: 20060086
	v_and_b32_e32 v0, 63, v0                                   // 000000002AE0: 260000BF
	s_mov_b32 s2, s2                                           // 000000002AE4: BE820002
	s_mov_b32 s3, s3                                           // 000000002AE8: BE830003
	s_mov_b32 s4, s4                                           // 000000002AEC: BE840004
	v_readfirstlane_b32 s7, v3                                 // 000000002AF0: 7E0E0503
	s_waitcnt lgkmcnt(0)                                       // 000000002AF4: BF8CC07F
	s_and_b32 s49, s49, 0xffff                                 // 000000002AF8: 8631FF31 0000FFFF
	s_load_dword s48, s[48:49], 0x0                            // 000000002B00: C0020C18 00000000
	s_and_b32 s45, s45, 0xffff                                 // 000000002B08: 862DFF2D 0000FFFF
	s_and_b32 s9, s9, 0xffff                                   // 000000002B10: 8609FF09 0000FFFF
	s_mul_i32 s60, s66, s68                                    // 000000002B18: 923C4442
	s_mul_i32 s61, s66, 4                                      // 000000002B1C: 923D8442
	s_mov_b32 s22, s60                                         // 000000002B20: BE96003C
	s_mov_b32 s26, -16                                         // 000000002B24: BE9A00D0
	s_mov_b32 s30, s61                                         // 000000002B28: BE9E003D
	s_mov_b32 s14, 0x80                                        // 000000002B2C: BE8E00FF 00000080
	s_mov_b32 s38, -16                                         // 000000002B34: BEA600D0
	s_mov_b32 s10, -16                                         // 000000002B38: BE8A00D0
	s_lshr_b32 s60, s64, 7                                     // 000000002B3C: 8F3C8740
	s_mul_i32 s61, s60, 4                                      // 000000002B40: 923D843C
	s_lshr_b32 s60, s65, 7                                     // 000000002B44: 8F3C8741
	s_add_u32 s60, s60, 2                                      // 000000002B48: 803C823C
	s_mul_i32 s60, s60, s61                                    // 000000002B4C: 923C3D3C
	s_mov_b32 s34, s60                                         // 000000002B50: BEA2003C
	s_mov_b32 s23, 0x20000                                     // 000000002B54: BE9700FF 00020000
	s_mov_b32 s27, 0x20000                                     // 000000002B5C: BE9B00FF 00020000
	s_mov_b32 s31, 0x20000                                     // 000000002B64: BE9F00FF 00020000
	s_mov_b32 s35, 0x20000                                     // 000000002B6C: BEA300FF 00020000
	s_mov_b32 s15, 0x20000                                     // 000000002B74: BE8F00FF 00020000
	s_mov_b32 s39, 0x20000                                     // 000000002B7C: BEA700FF 00020000
	s_mov_b32 s11, 0x20000                                     // 000000002B84: BE8B00FF 00020000
	s_and_b32 s21, s21, 0xffff                                 // 000000002B8C: 8615FF15 0000FFFF
	s_and_b32 s25, s25, 0xffff                                 // 000000002B94: 8619FF19 0000FFFF
	s_and_b32 s29, s29, 0xffff                                 // 000000002B9C: 861DFF1D 0000FFFF
	s_and_b32 s33, s33, 0xffff                                 // 000000002BA4: 8621FF21 0000FFFF
	s_and_b32 s13, s13, 0xffff                                 // 000000002BAC: 860DFF0D 0000FFFF
	s_and_b32 s37, s37, 0xffff                                 // 000000002BB4: 8625FF25 0000FFFF
	s_or_b32 s21, s21, 0x40000                                 // 000000002BBC: 8715FF15 00040000
	s_or_b32 s25, s25, 0x40000                                 // 000000002BC4: 8719FF19 00040000
	s_or_b32 s29, s29, 0x40000                                 // 000000002BCC: 871DFF1D 00040000
	s_or_b32 s33, s33, 0x40000                                 // 000000002BD4: 8721FF21 00040000
	s_or_b32 s13, s13, 0x40000                                 // 000000002BDC: 870DFF0D 00040000
	s_or_b32 s37, s37, 0x40000                                 // 000000002BE4: 8725FF25 00040000
	v_accvgpr_write_b32 a127, 0                                // 000000002BEC: D3D9407F 18000080
	v_mov_b32_e32 v111, 0                                      // 000000002BF4: 7EDE0280
	s_waitcnt lgkmcnt(0)                                       // 000000002BF8: BF8CC07F
	s_mul_i32 s60, s3, 32                                      // 000000002BFC: 923CA003
	s_cmp_lt_i32 s60, s48                                      // 000000002C00: BF04303C
	s_cbranch_scc0 label_225C                                  // 000000002C04: BF8421D7
	s_mov_b32 s80, 0                                           // 000000002C08: BED00080
	s_lshr_b32 s81, s64, s88                                   // 000000002C0C: 8F515840
	s_mul_i32 s60, s3, 4                                       // 000000002C10: 923C8403
	s_add_u32 s44, s60, s44                                    // 000000002C14: 802C2C3C
	s_addc_u32 s45, 0, s45                                     // 000000002C18: 822D2D80
	s_load_dword s5, s[44:45], 0x0                             // 000000002C1C: C0020156 00000000
	s_mul_i32 s60, s3, 32                                      // 000000002C24: 923CA003
	s_mul_i32 s60, 4, s60                                      // 000000002C28: 923C3C84
	s_add_u32 s12, s60, s12                                    // 000000002C2C: 800C0C3C
	s_addc_u32 s13, 0, s13                                     // 000000002C30: 820D0D80
	v_and_b32_e32 v4, 15, v0                                   // 000000002C34: 2608008F
	v_lshlrev_b32_e32 v4, 2, v4                                // 000000002C38: 24080882
	buffer_load_dword v30, v4, s[12:15], 0 offen               // 000000002C3C: E0501000 80031E04
	v_add_u32_e32 v4, 64, v4                                   // 000000002C44: 680808C0
	buffer_load_dword v31, v4, s[12:15], 0 offen               // 000000002C48: E0501000 80031F04
	v_add_u32_e32 v4, 64, v4                                   // 000000002C50: 680808C0
	s_mul_i32 s60, 4, s7                                       // 000000002C54: 923C0784
	v_lshlrev_b32_e32 v4, 4, v0                                // 000000002C58: 24080084
	v_add_u32_e32 v4, s60, v4                                  // 000000002C5C: 6808083C
	buffer_load_dword v3, v4, s[12:15], 0 offen                // 000000002C60: E0501000 80030304
	v_mov_b32_e32 v48, 0                                       // 000000002C68: 7E600280
	v_mov_b32_e32 v80, 0                                       // 000000002C6C: 7EA00280
	v_mov_b32_e32 v49, 0                                       // 000000002C70: 7E620280
	v_mov_b32_e32 v81, 0                                       // 000000002C74: 7EA20280
	v_mov_b32_e32 v50, 0                                       // 000000002C78: 7E640280
	v_mov_b32_e32 v82, 0                                       // 000000002C7C: 7EA40280
	v_mov_b32_e32 v51, 0                                       // 000000002C80: 7E660280
	v_mov_b32_e32 v83, 0                                       // 000000002C84: 7EA60280
	v_mov_b32_e32 v52, 0                                       // 000000002C88: 7E680280
	v_mov_b32_e32 v84, 0                                       // 000000002C8C: 7EA80280
	v_mov_b32_e32 v53, 0                                       // 000000002C90: 7E6A0280
	v_mov_b32_e32 v85, 0                                       // 000000002C94: 7EAA0280
	v_mov_b32_e32 v54, 0                                       // 000000002C98: 7E6C0280
	v_mov_b32_e32 v86, 0                                       // 000000002C9C: 7EAC0280
	v_mov_b32_e32 v55, 0                                       // 000000002CA0: 7E6E0280
	v_mov_b32_e32 v87, 0                                       // 000000002CA4: 7EAE0280
	v_mov_b32_e32 v56, 0                                       // 000000002CA8: 7E700280
	v_mov_b32_e32 v88, 0                                       // 000000002CAC: 7EB00280
	v_mov_b32_e32 v57, 0                                       // 000000002CB0: 7E720280
	v_mov_b32_e32 v89, 0                                       // 000000002CB4: 7EB20280
	v_mov_b32_e32 v58, 0                                       // 000000002CB8: 7E740280
	v_mov_b32_e32 v90, 0                                       // 000000002CBC: 7EB40280
	v_mov_b32_e32 v59, 0                                       // 000000002CC0: 7E760280
	v_mov_b32_e32 v91, 0                                       // 000000002CC4: 7EB60280
	v_mov_b32_e32 v60, 0                                       // 000000002CC8: 7E780280
	v_mov_b32_e32 v92, 0                                       // 000000002CCC: 7EB80280
	v_mov_b32_e32 v61, 0                                       // 000000002CD0: 7E7A0280
	v_mov_b32_e32 v93, 0                                       // 000000002CD4: 7EBA0280
	v_mov_b32_e32 v62, 0                                       // 000000002CD8: 7E7C0280
	v_mov_b32_e32 v94, 0                                       // 000000002CDC: 7EBC0280
	v_mov_b32_e32 v63, 0                                       // 000000002CE0: 7E7E0280
	v_mov_b32_e32 v95, 0                                       // 000000002CE4: 7EBE0280
	v_mov_b32_e32 v64, 0                                       // 000000002CE8: 7E800280
	v_mov_b32_e32 v96, 0                                       // 000000002CEC: 7EC00280
	v_mov_b32_e32 v65, 0                                       // 000000002CF0: 7E820280
	v_mov_b32_e32 v97, 0                                       // 000000002CF4: 7EC20280
	v_mov_b32_e32 v66, 0                                       // 000000002CF8: 7E840280
	v_mov_b32_e32 v98, 0                                       // 000000002CFC: 7EC40280
	v_mov_b32_e32 v67, 0                                       // 000000002D00: 7E860280
	v_mov_b32_e32 v99, 0                                       // 000000002D04: 7EC60280
	v_mov_b32_e32 v68, 0                                       // 000000002D08: 7E880280
	v_mov_b32_e32 v100, 0                                      // 000000002D0C: 7EC80280
	v_mov_b32_e32 v69, 0                                       // 000000002D10: 7E8A0280
	v_mov_b32_e32 v101, 0                                      // 000000002D14: 7ECA0280
	v_mov_b32_e32 v70, 0                                       // 000000002D18: 7E8C0280
	v_mov_b32_e32 v102, 0                                      // 000000002D1C: 7ECC0280
	v_mov_b32_e32 v71, 0                                       // 000000002D20: 7E8E0280
	v_mov_b32_e32 v103, 0                                      // 000000002D24: 7ECE0280
	v_mov_b32_e32 v72, 0                                       // 000000002D28: 7E900280
	v_mov_b32_e32 v104, 0                                      // 000000002D2C: 7ED00280
	v_mov_b32_e32 v73, 0                                       // 000000002D30: 7E920280
	v_mov_b32_e32 v105, 0                                      // 000000002D34: 7ED20280
	v_mov_b32_e32 v74, 0                                       // 000000002D38: 7E940280
	v_mov_b32_e32 v106, 0                                      // 000000002D3C: 7ED40280
	v_mov_b32_e32 v75, 0                                       // 000000002D40: 7E960280
	v_mov_b32_e32 v107, 0                                      // 000000002D44: 7ED60280
	v_mov_b32_e32 v76, 0                                       // 000000002D48: 7E980280
	v_mov_b32_e32 v108, 0                                      // 000000002D4C: 7ED80280
	v_mov_b32_e32 v77, 0                                       // 000000002D50: 7E9A0280
	v_mov_b32_e32 v109, 0                                      // 000000002D54: 7EDA0280
	v_mov_b32_e32 v78, 0                                       // 000000002D58: 7E9C0280
	v_mov_b32_e32 v110, 0                                      // 000000002D5C: 7EDC0280
	v_mov_b32_e32 v79, 0                                       // 000000002D60: 7E9E0280
	v_mov_b32_e32 v111, 0                                      // 000000002D64: 7EDE0280
	s_mul_i32 s60, s2, 0x100                                   // 000000002D68: 923CFF02 00000100
	s_cmp_eq_u32 s88, 0                                        // 000000002D70: BF068058
	s_cselect_b32 s61, 1, 4                                    // 000000002D74: 853D8481
	s_mul_i32 s60, s60, s61                                    // 000000002D78: 923C3D3C
	s_mov_b32 s90, s8                                          // 000000002D7C: BEDA0008
	s_mov_b32 s91, s9                                          // 000000002D80: BEDB0009
	s_add_u32 s8, s60, s8                                      // 000000002D84: 8008083C
	s_addc_u32 s9, 0, s9                                       // 000000002D88: 82090980
	v_lshrrev_b32_e32 v4, 4, v0                                // 000000002D8C: 20080084
	v_mul_lo_u32 v20, 34, v4                                   // 000000002D90: D2850014 000208A2
	v_and_b32_e32 v4, 15, v0                                   // 000000002D98: 2608008F
	v_mul_lo_u32 v5, 2, v4                                     // 000000002D9C: D2850005 00020882
	v_add_u32_e32 v20, v5, v20                                 // 000000002DA4: 68282905
	s_mul_i32 s60, s7, 0x88                                    // 000000002DA8: 923CFF07 00000088
	v_add_u32_e32 v20, s60, v20                                // 000000002DB0: 6828283C
	v_lshlrev_b32_e32 v20, 2, v20                              // 000000002DB4: 24282882
	v_and_b32_e32 v4, 31, v0                                   // 000000002DB8: 2608009F
	v_lshrrev_b32_e32 v4, 1, v4                                // 000000002DBC: 20080881
	v_mul_lo_u32 v21, 34, v4                                   // 000000002DC0: D2850015 000208A2
	v_lshrrev_b32_e32 v4, 5, v0                                // 000000002DC8: 20080085
	v_mul_lo_u32 v4, 8, v4                                     // 000000002DCC: D2850004 00020888
	v_add_u32_e32 v21, v21, v4                                 // 000000002DD4: 682A0915
	v_and_b32_e32 v5, 1, v0                                    // 000000002DD8: 260A0081
	v_add_u32_e32 v21, v5, v21                                 // 000000002DDC: 682A2B05
	s_mul_i32 s60, s7, 2                                       // 000000002DE0: 923C8207
	v_add_u32_e32 v21, s60, v21                                // 000000002DE4: 682A2A3C
	v_lshlrev_b32_e32 v21, 2, v21                              // 000000002DE8: 242A2A82
	s_mul_i32 s60, s7, 0x420                                   // 000000002DEC: 923CFF07 00000420
	s_add_u32 s48, 0, s60                                      // 000000002DF4: 80303C80
	s_add_u32 s49, 0x1080, s48                                 // 000000002DF8: 803130FF 00001080
	s_add_u32 s50, 0x1080, s49                                 // 000000002E00: 803231FF 00001080
	v_lshrrev_b32_e32 v4, 4, v0                                // 000000002E08: 20080084
	v_lshlrev_b32_e32 v5, 2, v4                                // 000000002E0C: 240A0882
	v_and_b32_e32 v4, 15, v0                                   // 000000002E10: 2608008F
	v_lshrrev_b32_e32 v6, 2, v4                                // 000000002E14: 200C0882
	v_lshlrev_b32_e32 v6, 5, v6                                // 000000002E18: 240C0C85
	v_add_u32_e32 v5, v6, v5                                   // 000000002E1C: 680A0B06
	v_and_b32_e32 v4, 3, v0                                    // 000000002E20: 26080083
	v_mul_u32_u24_e32 v6, 0x108, v4                            // 000000002E24: 100C08FF 00000108
	v_add_u32_e32 v5, v6, v5                                   // 000000002E2C: 680A0B06
	v_lshlrev_b32_e32 v2, 2, v5                                // 000000002E30: 24040A82
	s_waitcnt lgkmcnt(0)                                       // 000000002E34: BF8CC07F
	s_mul_i32 s60, s2, 0x100                                   // 000000002E38: 923CFF02 00000100
	s_mul_i32 s60, s60, s69                                    // 000000002E40: 923C453C
	s_mul_i32 s61, s5, s72                                     // 000000002E44: 923D4805
	s_add_u32 s60, s61, s60                                    // 000000002E48: 803C3C3D
	s_add_u32 s24, s60, s24                                    // 000000002E4C: 8018183C
	s_addc_u32 s25, 0, s25                                     // 000000002E50: 82191980
	s_lshr_b32 s60, s64, s88                                   // 000000002E54: 8F3C5840
	s_mul_i32 s60, s4, s60                                     // 000000002E58: 923C3C04
	s_lshr_b32 s60, s60, 7                                     // 000000002E5C: 8F3C873C
	s_mul_i32 s60, s60, 0x800                                  // 000000002E60: 923CFF3C 00000800
	s_add_u32 s24, s60, s24                                    // 000000002E68: 8018183C
	s_addc_u32 s25, 0, s25                                     // 000000002E6C: 82191980
	s_lshr_b32 s60, s69, s88                                   // 000000002E70: 8F3C5845
	s_mul_i32 s60, s4, s60                                     // 000000002E74: 923C3C04
	s_add_u32 s20, s60, s20                                    // 000000002E78: 8014143C
	s_addc_u32 s21, 0, s21                                     // 000000002E7C: 82151580
	s_mul_i32 s60, s7, 16                                      // 000000002E80: 923C9007
	s_mul_i32 s60, s60, s69                                    // 000000002E84: 923C453C
	v_lshlrev_b32_e32 v42, 4, v0                               // 000000002E88: 24540084
	v_add_u32_e32 v42, s60, v42                                // 000000002E8C: 6854543C
	s_mul_i32 s60, 64, s69                                     // 000000002E90: 923C45C0
	v_add_u32_e32 v43, s60, v42                                // 000000002E94: 6856543C
	v_add_u32_e32 v44, s60, v43                                // 000000002E98: 6858563C
	v_add_u32_e32 v45, s60, v44                                // 000000002E9C: 685A583C
	s_mov_b32 s84, s24                                         // 000000002EA0: BED40018
	s_mov_b32 s85, s25                                         // 000000002EA4: BED50019
	s_mov_b32 s86, s26                                         // 000000002EA8: BED6001A
	s_mov_b32 s87, s27                                         // 000000002EAC: BED7001B
	s_mul_i32 s60, s69, s65                                    // 000000002EB0: 923C4145
	s_add_u32 s84, s60, s84                                    // 000000002EB4: 8054543C
	s_addc_u32 s85, 0, s85                                     // 000000002EB8: 82555580
	s_lshr_b32 s60, s64, 7                                     // 000000002EBC: 8F3C8740
	s_mul_i32 s61, s60, 4                                      // 000000002EC0: 923D843C
	v_and_b32_e32 v22, 15, v0                                  // 000000002EC4: 262C008F
	v_mul_lo_u32 v22, v22, s61                                 // 000000002EC8: D2850016 00007B16
	s_lshr_b32 s60, s65, 7                                     // 000000002ED0: 8F3C8741
	s_mul_i32 s60, s60, s61                                    // 000000002ED4: 923C3D3C
	v_add_u32_e64 v23, v22, s60                                // 000000002ED8: D1340017 00007916
	s_mul_i32 s60, s2, 2                                       // 000000002EE0: 923C8202
	s_mul_i32 s60, s60, s61                                    // 000000002EE4: 923C3D3C
	s_mul_i32 s61, s5, s74                                     // 000000002EE8: 923D4A05
	s_add_u32 s61, s61, s60                                    // 000000002EEC: 803D3C3D
	s_add_u32 s32, s61, s32                                    // 000000002EF0: 8020203D
	s_addc_u32 s33, 0, s33                                     // 000000002EF4: 82212180
	s_lshr_b32 s60, s64, 7                                     // 000000002EF8: 8F3C8740
	s_lshr_b32 s60, s60, s88                                   // 000000002EFC: 8F3C583C
	s_mul_i32 s60, s4, s60                                     // 000000002F00: 923C3C04
	s_mul_i32 s61, s60, 4                                      // 000000002F04: 923D843C
	s_add_u32 s32, s61, s32                                    // 000000002F08: 8020203D
	s_addc_u32 s33, 0, s33                                     // 000000002F0C: 82212180
	s_lshl_b32 s62, s66, 2                                     // 000000002F10: 8E3E8242
	s_mul_i32 s62, s60, s62                                    // 000000002F14: 923E3E3C
	s_add_u32 s28, s62, s28                                    // 000000002F18: 801C1C3E
	s_addc_u32 s29, 0, s29                                     // 000000002F1C: 821D1D80
	s_mov_b32 s4, 4                                            // 000000002F20: BE840084
	s_mov_b32 s57, 0x80                                        // 000000002F24: BEB900FF 00000080
	s_mov_b32 s58, 0x800                                       // 000000002F2C: BEBA00FF 00000800
	s_mov_b32 s83, s58                                         // 000000002F34: BED3003A
	s_mov_b32 s52, 0x7060302                                   // 000000002F38: BEB400FF 07060302
	s_mov_b32 s53, 0x400                                       // 000000002F40: BEB500FF 00000400
	s_mov_b32 s54, 0x40100                                     // 000000002F48: BEB600FF 00040100
	s_mov_b32 s55, 0x4020100                                   // 000000002F50: BEB700FF 04020100
	s_mov_b32 s6, 0x3fb8aa3b                                   // 000000002F58: BE8600FF 3FB8AA3B
	s_mov_b32 s78, 0xbd92220c                                  // 000000002F60: BECE00FF BD92220C
	s_mov_b32 s79, 0xbd92220c                                  // 000000002F68: BECF00FF BD92220C
	s_mov_b32 m0, s48                                          // 000000002F70: BEFC0030
	v_mov_b32_e32 v1, 0xbfcc4231                               // 000000002F74: 7E0202FF BFCC4231
	v_mov_b32_e32 v17, 0xffff0000                              // 000000002F7C: 7E2202FF FFFF0000
	v_mov_b32_e32 v18, 0x7fff0000                              // 000000002F84: 7E2402FF 7FFF0000
	v_mov_b32_e32 v19, 0x7fff                                  // 000000002F8C: 7E2602FF 00007FFF
	s_waitcnt vmcnt(0) expcnt(0) lgkmcnt(0)                    // 000000002F94: BF8C0000
	v_lshrrev_b32_e32 v4, 5, v0                                // 000000002F98: 20080085
	v_xor_b32_e32 v5, 1, v4                                    // 000000002F9C: 2A0A0881
	v_readlane_b32 s82, v3, 0                                  // 000000002FA0: D2890052 00010103
	s_and_b32 s82, s82, 0xffffff                               // 000000002FA8: 8652FF52 00FFFFFF
	v_mul_lo_u32 v6, v5, s82                                   // 000000002FB0: D2850006 0000A505
	v_readlane_b32 s82, v3, 1                                  // 000000002FB8: D2890052 00010303
	s_and_b32 s82, s82, 0xffffff                               // 000000002FC0: 8652FF52 00FFFFFF
	v_mul_lo_u32 v7, v4, s82                                   // 000000002FC8: D2850007 0000A504
	v_add_u32_e32 v38, v6, v7                                  // 000000002FD0: 684C0F06
	v_mul_lo_u32 v38, v38, s68                                 // 000000002FD4: D2850026 00008926
	v_readlane_b32 s82, v3, 2                                  // 000000002FDC: D2890052 00010503
	s_and_b32 s82, s82, 0xffffff                               // 000000002FE4: 8652FF52 00FFFFFF
	v_mul_lo_u32 v6, v5, s82                                   // 000000002FEC: D2850006 0000A505
	v_readlane_b32 s82, v3, 3                                  // 000000002FF4: D2890052 00010703
	s_and_b32 s82, s82, 0xffffff                               // 000000002FFC: 8652FF52 00FFFFFF
	v_mul_lo_u32 v7, v4, s82                                   // 000000003004: D2850007 0000A504
	v_add_u32_e32 v39, v6, v7                                  // 00000000300C: 684E0F06
	v_mul_lo_u32 v39, v39, s68                                 // 000000003010: D2850027 00008927
	v_readlane_b32 s82, v3, 4                                  // 000000003018: D2890052 00010903
	s_and_b32 s82, s82, 0xffffff                               // 000000003020: 8652FF52 00FFFFFF
	v_mul_lo_u32 v6, v5, s82                                   // 000000003028: D2850006 0000A505
	v_readlane_b32 s82, v3, 5                                  // 000000003030: D2890052 00010B03
	s_and_b32 s82, s82, 0xffffff                               // 000000003038: 8652FF52 00FFFFFF
	v_mul_lo_u32 v7, v4, s82                                   // 000000003040: D2850007 0000A504
	v_add_u32_e32 v40, v6, v7                                  // 000000003048: 68500F06
	v_mul_lo_u32 v40, v40, s68                                 // 00000000304C: D2850028 00008928
	v_readlane_b32 s82, v3, 6                                  // 000000003054: D2890052 00010D03
	s_and_b32 s82, s82, 0xffffff                               // 00000000305C: 8652FF52 00FFFFFF
	v_mul_lo_u32 v6, v5, s82                                   // 000000003064: D2850006 0000A505
	v_readlane_b32 s82, v3, 7                                  // 00000000306C: D2890052 00010F03
	s_and_b32 s82, s82, 0xffffff                               // 000000003074: 8652FF52 00FFFFFF
	v_mul_lo_u32 v7, v4, s82                                   // 00000000307C: D2850007 0000A504
	v_add_u32_e32 v41, v6, v7                                  // 000000003084: 68520F06
	v_mul_lo_u32 v41, v41, s68                                 // 000000003088: D2850029 00008929
	v_and_b32_e32 v4, 31, v0                                   // 000000003090: 2608009F
	v_lshlrev_b32_e32 v4, 2, v4                                // 000000003094: 24080882
	v_add_u32_e32 v38, v38, v4                                 // 000000003098: 684C0926
	v_add_u32_e32 v39, v39, v4                                 // 00000000309C: 684E0927
	v_add_u32_e32 v40, v40, v4                                 // 0000000030A0: 68500928
	v_add_u32_e32 v41, v41, v4                                 // 0000000030A4: 68520929
	v_and_b32_e32 v30, 0xffffff, v30                           // 0000000030A8: 263C3CFF 00FFFFFF
	v_lshlrev_b32_e32 v30, 2, v30                              // 0000000030B0: 243C3C82
	v_and_b32_e32 v31, 0xffffff, v31                           // 0000000030B4: 263E3EFF 00FFFFFF
	v_lshlrev_b32_e32 v31, 2, v31                              // 0000000030BC: 243E3E82
	s_lshl_b32 s3, s66, 2                                      // 0000000030C0: 8E038242
	buffer_load_dword v38, s[20:23], 0 offen lds               // 0000000030C4: E0511000 80050026
	s_add_u32 m0, 0x100, s48                                   // 0000000030CC: 807C30FF 00000100
	buffer_load_dword v39, s[20:23], 0 offen lds               // 0000000030D4: E0511000 80050027
	s_add_u32 m0, 0x200, s48                                   // 0000000030DC: 807C30FF 00000200
	buffer_load_dword v40, s[20:23], 0 offen lds               // 0000000030E4: E0511000 80050028
	s_add_u32 m0, 0x300, s48                                   // 0000000030EC: 807C30FF 00000300
	buffer_load_dword v41, s[20:23], 0 offen lds               // 0000000030F4: E0511000 80050029
	s_add_u32 m0, 0, s49                                       // 0000000030FC: 807C3180
	s_add_u32 s20, s57, s20                                    // 000000003100: 80141439
	s_addc_u32 s21, 0, s21                                     // 000000003104: 82151580
	buffer_load_dword v32, v30, s[28:31], 0 offen              // 000000003108: E0501000 8007201E
	buffer_load_dword v33, v31, s[28:31], 0 offen              // 000000003110: E0501000 8007211F
	s_add_u32 s28, s3, s28                                     // 000000003118: 801C1C03
	s_addc_u32 s29, 0, s29                                     // 00000000311C: 821D1D80
	buffer_load_dwordx4 a[32:35], v42, s[24:27], 0 offen       // 000000003120: E05C1000 8086202A
	buffer_load_dwordx4 a[36:39], v42, s[24:27], 0 offen offset:1024// 000000003128: E05C1400 8086242A
	buffer_load_dwordx4 a[40:43], v43, s[24:27], 0 offen       // 000000003130: E05C1000 8086282B
	buffer_load_dwordx4 a[44:47], v43, s[24:27], 0 offen offset:1024// 000000003138: E05C1400 80862C2B
	buffer_load_dwordx4 a[48:51], v44, s[24:27], 0 offen       // 000000003140: E05C1000 8086302C
	buffer_load_dwordx4 a[52:55], v44, s[24:27], 0 offen offset:1024// 000000003148: E05C1400 8086342C
	buffer_load_dwordx4 a[56:59], v45, s[24:27], 0 offen       // 000000003150: E05C1000 8086382D
	buffer_load_dwordx4 a[60:63], v45, s[24:27], 0 offen offset:1024// 000000003158: E05C1400 80863C2D
	s_add_u32 s24, s58, s24                                    // 000000003160: 8018183A
	s_addc_u32 s25, 0, s25                                     // 000000003164: 82191980
	buffer_load_dword v24, v22, s[32:35], 0 offen              // 000000003168: E0501000 80081816
	buffer_load_dword v38, s[20:23], 0 offen lds               // 000000003170: E0511000 80050026
	s_add_u32 m0, 0x100, s49                                   // 000000003178: 807C31FF 00000100
	buffer_load_dword v39, s[20:23], 0 offen lds               // 000000003180: E0511000 80050027
	s_add_u32 m0, 0x200, s49                                   // 000000003188: 807C31FF 00000200
	buffer_load_dword v40, s[20:23], 0 offen lds               // 000000003190: E0511000 80050028
	s_add_u32 m0, 0x300, s49                                   // 000000003198: 807C31FF 00000300
	buffer_load_dword v41, s[20:23], 0 offen lds               // 0000000031A0: E0511000 80050029
	s_add_u32 m0, 0, s50                                       // 0000000031A8: 807C3280
	s_add_u32 s20, s57, s20                                    // 0000000031AC: 80141439
	s_addc_u32 s21, 0, s21                                     // 0000000031B0: 82151580
	buffer_load_dword v34, v30, s[28:31], 0 offen              // 0000000031B4: E0501000 8007221E
	buffer_load_dword v35, v31, s[28:31], 0 offen              // 0000000031BC: E0501000 8007231F
	s_add_u32 s28, s3, s28                                     // 0000000031C4: 801C1C03
	s_addc_u32 s29, 0, s29                                     // 0000000031C8: 821D1D80
	buffer_load_dwordx4 a[64:67], v42, s[84:87], 0 offen       // 0000000031CC: E05C1000 8095402A
	buffer_load_dwordx4 a[68:71], v42, s[84:87], 0 offen offset:1024// 0000000031D4: E05C1400 8095442A
	buffer_load_dwordx4 a[72:75], v43, s[84:87], 0 offen       // 0000000031DC: E05C1000 8095482B
	buffer_load_dwordx4 a[76:79], v43, s[84:87], 0 offen offset:1024// 0000000031E4: E05C1400 80954C2B
	buffer_load_dwordx4 a[80:83], v44, s[84:87], 0 offen       // 0000000031EC: E05C1000 8095502C
	buffer_load_dwordx4 a[84:87], v44, s[84:87], 0 offen offset:1024// 0000000031F4: E05C1400 8095542C
	buffer_load_dwordx4 a[88:91], v45, s[84:87], 0 offen       // 0000000031FC: E05C1000 8095582D
	buffer_load_dwordx4 a[92:95], v45, s[84:87], 0 offen offset:1024// 000000003204: E05C1400 80955C2D
	s_add_u32 s84, s83, s84                                    // 00000000320C: 80545453
	s_addc_u32 s85, 0, s85                                     // 000000003210: 82555580
	buffer_load_dword v27, v23, s[32:35], 0 offen              // 000000003214: E0501000 80081B17
	s_add_u32 s32, s4, s32                                     // 00000000321C: 80202004
	s_addc_u32 s33, 0, s33                                     // 000000003220: 82212180
	s_waitcnt vmcnt(26)                                        // 000000003224: BF8C4F7A
	s_barrier                                                  // 000000003228: BF8A0000
	ds_read_b128 a[0:3], v2                                    // 00000000322C: DBFE0000 00000002
	ds_read_b128 a[4:7], v2 offset:64                          // 000000003234: DBFE0040 04000002
	ds_read_b128 a[8:11], v2 offset:512                        // 00000000323C: DBFE0200 08000002
	ds_read_b128 a[12:15], v2 offset:576                       // 000000003244: DBFE0240 0C000002
	s_cmp_lt_i32 s7, 2                                         // 00000000324C: BF048207
	s_cbranch_scc0 label_123A                                  // 000000003250: BF841022

0000000000003254 <label_0215>:
	s_waitcnt vmcnt(15) lgkmcnt(0)                             // 000000003254: BF8C007F
	v_mul_f32_dpp v4, v24, v32 row_newbcast:0 row_mask:0xf bank_mask:0xf// 000000003258: 0A0840FA FF015018
	v_mfma_f32_16x16x32_fp8_fp8 v[8:11], a[32:33], a[0:1], 0   // 000000003260: D3F30008 1A020120
	buffer_load_dword v25, v22, s[32:35], 0 offen              // 000000003268: E0501000 80081916
	v_mfma_f32_16x16x32_fp8_fp8 v[8:11], a[34:35], a[2:3], v[8:11]// 000000003270: D3F30008 1C220522
	buffer_load_dwordx4 a[96:99], v42, s[24:27], 0 offen       // 000000003278: E05C1000 8086602A
	v_mfma_f32_16x16x32_fp8_fp8 v[8:11], a[36:37], a[4:5], v[8:11]// 000000003280: D3F30008 1C220924
	v_mfma_f32_16x16x32_fp8_fp8 v[8:11], a[38:39], a[6:7], v[8:11]// 000000003288: D3F30008 1C220D26
	v_mfma_f32_16x16x32_fp8_fp8 v[12:15], a[40:41], a[0:1], 0  // 000000003290: D3F3000C 1A020128
	v_mfma_f32_16x16x32_fp8_fp8 v[12:15], a[42:43], a[2:3], v[12:15]// 000000003298: D3F3000C 1C32052A
	buffer_load_dwordx4 a[100:103], v42, s[24:27], 0 offen offset:1024// 0000000032A0: E05C1400 8086642A
	v_mfma_f32_16x16x32_fp8_fp8 v[12:15], a[44:45], a[4:5], v[12:15]// 0000000032A8: D3F3000C 1C32092C
	v_mfma_f32_16x16x32_fp8_fp8 v[12:15], a[46:47], a[6:7], v[12:15]// 0000000032B0: D3F3000C 1C320D2E
	v_fma_f32 v48, v8, v4, v48                                 // 0000000032B8: D1CB0030 04C20908
	v_fma_f32 v49, v9, v4, v49                                 // 0000000032C0: D1CB0031 04C60909
	v_fma_f32 v50, v10, v4, v50                                // 0000000032C8: D1CB0032 04CA090A
	v_fma_f32 v51, v11, v4, v51                                // 0000000032D0: D1CB0033 04CE090B
	v_mul_f32_dpp v6, v24, v32 row_newbcast:1 row_mask:0xf bank_mask:0xf// 0000000032D8: 0A0C40FA FF015118
	v_mfma_f32_16x16x32_fp8_fp8 v[8:11], a[48:49], a[0:1], 0   // 0000000032E0: D3F30008 1A020130
	v_mfma_f32_16x16x32_fp8_fp8 v[8:11], a[50:51], a[2:3], v[8:11]// 0000000032E8: D3F30008 1C220532
	buffer_load_dwordx4 a[104:107], v43, s[24:27], 0 offen     // 0000000032F0: E05C1000 8086682B
	v_mfma_f32_16x16x32_fp8_fp8 v[8:11], a[52:53], a[4:5], v[8:11]// 0000000032F8: D3F30008 1C220934
	v_mfma_f32_16x16x32_fp8_fp8 v[8:11], a[54:55], a[6:7], v[8:11]// 000000003300: D3F30008 1C220D36
	v_fma_f32 v56, v12, v4, v56                                // 000000003308: D1CB0038 04E2090C
	v_fma_f32 v57, v13, v4, v57                                // 000000003310: D1CB0039 04E6090D
	v_fma_f32 v58, v14, v4, v58                                // 000000003318: D1CB003A 04EA090E
	v_fma_f32 v59, v15, v4, v59                                // 000000003320: D1CB003B 04EE090F
	v_mfma_f32_16x16x32_fp8_fp8 v[12:15], a[56:57], a[0:1], 0  // 000000003328: D3F3000C 1A020138
	v_mfma_f32_16x16x32_fp8_fp8 v[12:15], a[58:59], a[2:3], v[12:15]// 000000003330: D3F3000C 1C32053A
	buffer_load_dwordx4 a[108:111], v43, s[24:27], 0 offen offset:1024// 000000003338: E05C1400 80866C2B
	v_mfma_f32_16x16x32_fp8_fp8 v[12:15], a[60:61], a[4:5], v[12:15]// 000000003340: D3F3000C 1C32093C
	v_mfma_f32_16x16x32_fp8_fp8 v[12:15], a[62:63], a[6:7], v[12:15]// 000000003348: D3F3000C 1C320D3E
	v_fma_f32 v64, v8, v6, v64                                 // 000000003350: D1CB0040 05020D08
	v_fma_f32 v65, v9, v6, v65                                 // 000000003358: D1CB0041 05060D09
	v_fma_f32 v66, v10, v6, v66                                // 000000003360: D1CB0042 050A0D0A
	v_fma_f32 v67, v11, v6, v67                                // 000000003368: D1CB0043 050E0D0B
	v_mul_f32_dpp v4, v24, v33 row_newbcast:0 row_mask:0xf bank_mask:0xf// 000000003370: 0A0842FA FF015018
	v_mfma_f32_16x16x32_fp8_fp8 v[8:11], a[32:33], a[8:9], 0   // 000000003378: D3F30008 1A021120
	v_mfma_f32_16x16x32_fp8_fp8 v[8:11], a[34:35], a[10:11], v[8:11]// 000000003380: D3F30008 1C221522
	buffer_load_dwordx4 a[112:115], v44, s[24:27], 0 offen     // 000000003388: E05C1000 8086702C
	v_mfma_f32_16x16x32_fp8_fp8 v[8:11], a[36:37], a[12:13], v[8:11]// 000000003390: D3F30008 1C221924
	v_mfma_f32_16x16x32_fp8_fp8 v[8:11], a[38:39], a[14:15], v[8:11]// 000000003398: D3F30008 1C221D26
	v_fma_f32 v72, v12, v6, v72                                // 0000000033A0: D1CB0048 05220D0C
	v_fma_f32 v73, v13, v6, v73                                // 0000000033A8: D1CB0049 05260D0D
	v_fma_f32 v74, v14, v6, v74                                // 0000000033B0: D1CB004A 052A0D0E
	v_fma_f32 v75, v15, v6, v75                                // 0000000033B8: D1CB004B 052E0D0F
	v_mfma_f32_16x16x32_fp8_fp8 v[12:15], a[40:41], a[8:9], 0  // 0000000033C0: D3F3000C 1A021128
	v_mfma_f32_16x16x32_fp8_fp8 v[12:15], a[42:43], a[10:11], v[12:15]// 0000000033C8: D3F3000C 1C32152A
	buffer_load_dwordx4 a[116:119], v44, s[24:27], 0 offen offset:1024// 0000000033D0: E05C1400 8086742C
	v_mfma_f32_16x16x32_fp8_fp8 v[12:15], a[44:45], a[12:13], v[12:15]// 0000000033D8: D3F3000C 1C32192C
	v_mfma_f32_16x16x32_fp8_fp8 v[12:15], a[46:47], a[14:15], v[12:15]// 0000000033E0: D3F3000C 1C321D2E
	v_fma_f32 v52, v8, v4, v52                                 // 0000000033E8: D1CB0034 04D20908
	v_fma_f32 v53, v9, v4, v53                                 // 0000000033F0: D1CB0035 04D60909
	v_fma_f32 v54, v10, v4, v54                                // 0000000033F8: D1CB0036 04DA090A
	v_fma_f32 v55, v11, v4, v55                                // 000000003400: D1CB0037 04DE090B
	v_mul_f32_dpp v6, v24, v33 row_newbcast:1 row_mask:0xf bank_mask:0xf// 000000003408: 0A0C42FA FF015118
	v_mfma_f32_16x16x32_fp8_fp8 v[8:11], a[48:49], a[8:9], 0   // 000000003410: D3F30008 1A021130
	v_mfma_f32_16x16x32_fp8_fp8 v[8:11], a[50:51], a[10:11], v[8:11]// 000000003418: D3F30008 1C221532
	buffer_load_dwordx4 a[120:123], v45, s[24:27], 0 offen     // 000000003420: E05C1000 8086782D
	v_mfma_f32_16x16x32_fp8_fp8 v[8:11], a[52:53], a[12:13], v[8:11]// 000000003428: D3F30008 1C221934
	v_mfma_f32_16x16x32_fp8_fp8 v[8:11], a[54:55], a[14:15], v[8:11]// 000000003430: D3F30008 1C221D36
	v_fma_f32 v60, v12, v4, v60                                // 000000003438: D1CB003C 04F2090C
	v_fma_f32 v61, v13, v4, v61                                // 000000003440: D1CB003D 04F6090D
	v_fma_f32 v62, v14, v4, v62                                // 000000003448: D1CB003E 04FA090E
	v_fma_f32 v63, v15, v4, v63                                // 000000003450: D1CB003F 04FE090F
	v_mfma_f32_16x16x32_fp8_fp8 v[12:15], a[56:57], a[8:9], 0  // 000000003458: D3F3000C 1A021138
	v_mfma_f32_16x16x32_fp8_fp8 v[12:15], a[58:59], a[10:11], v[12:15]// 000000003460: D3F3000C 1C32153A
	buffer_load_dwordx4 a[124:127], v45, s[24:27], 0 offen offset:1024// 000000003468: E05C1400 80867C2D
	buffer_load_dword v38, s[20:23], 0 offen lds               // 000000003470: E0511000 80050026
	s_add_u32 m0, 0x100, s50                                   // 000000003478: 807C32FF 00000100
	v_mfma_f32_16x16x32_fp8_fp8 v[12:15], a[60:61], a[12:13], v[12:15]// 000000003480: D3F3000C 1C32193C
	v_mfma_f32_16x16x32_fp8_fp8 v[12:15], a[62:63], a[14:15], v[12:15]// 000000003488: D3F3000C 1C321D3E
	buffer_load_dword v39, s[20:23], 0 offen lds               // 000000003490: E0511000 80050027
	s_add_u32 m0, 0x200, s50                                   // 000000003498: 807C32FF 00000200
	v_fma_f32 v68, v8, v6, v68                                 // 0000000034A0: D1CB0044 05120D08
	v_fma_f32 v69, v9, v6, v69                                 // 0000000034A8: D1CB0045 05160D09
	v_fma_f32 v70, v10, v6, v70                                // 0000000034B0: D1CB0046 051A0D0A
	v_fma_f32 v71, v11, v6, v71                                // 0000000034B8: D1CB0047 051E0D0B
	v_fma_f32 v76, v12, v6, v76                                // 0000000034C0: D1CB004C 05320D0C
	v_fma_f32 v77, v13, v6, v77                                // 0000000034C8: D1CB004D 05360D0D
	v_fma_f32 v78, v14, v6, v78                                // 0000000034D0: D1CB004E 053A0D0E
	v_fma_f32 v79, v15, v6, v79                                // 0000000034D8: D1CB004F 053E0D0F
	buffer_load_dword v40, s[20:23], 0 offen lds               // 0000000034E0: E0511000 80050028
	s_add_u32 m0, 0x300, s50                                   // 0000000034E8: 807C32FF 00000300
	buffer_load_dword v41, s[20:23], 0 offen lds               // 0000000034F0: E0511000 80050029
	s_add_u32 m0, 0, s48                                       // 0000000034F8: 807C3080
	buffer_load_dword v36, v30, s[28:31], 0 offen              // 0000000034FC: E0501000 8007241E
	buffer_load_dword v37, v31, s[28:31], 0 offen              // 000000003504: E0501000 8007251F
	s_waitcnt vmcnt(15)                                        // 00000000350C: BF8C0F7F
	s_barrier                                                  // 000000003510: BF8A0000
	v_mul_f32_dpp v4, v27, v32 row_newbcast:0 row_mask:0xf bank_mask:0xf// 000000003514: 0A0840FA FF01501B
	v_mfma_f32_16x16x32_fp8_fp8 v[8:11], a[64:65], a[0:1], 0   // 00000000351C: D3F30008 1A020140
	buffer_load_dword v28, v23, s[32:35], 0 offen              // 000000003524: E0501000 80081C17
	v_mfma_f32_16x16x32_fp8_fp8 v[8:11], a[66:67], a[2:3], v[8:11]// 00000000352C: D3F30008 1C220542
	buffer_load_dwordx4 a[32:35], v42, s[84:87], 0 offen       // 000000003534: E05C1000 8095202A
	v_mfma_f32_16x16x32_fp8_fp8 v[8:11], a[68:69], a[4:5], v[8:11]// 00000000353C: D3F30008 1C220944
	v_mfma_f32_16x16x32_fp8_fp8 v[8:11], a[70:71], a[6:7], v[8:11]// 000000003544: D3F30008 1C220D46
	ds_read_b128 a[16:19], v2 offset:4224                      // 00000000354C: DBFE1080 10000002
	ds_read_b128 a[20:23], v2 offset:4288                      // 000000003554: DBFE10C0 14000002
	v_mfma_f32_16x16x32_fp8_fp8 v[12:15], a[72:73], a[0:1], 0  // 00000000355C: D3F3000C 1A020148
	v_mfma_f32_16x16x32_fp8_fp8 v[12:15], a[74:75], a[2:3], v[12:15]// 000000003564: D3F3000C 1C32054A
	buffer_load_dwordx4 a[36:39], v42, s[84:87], 0 offen offset:1024// 00000000356C: E05C1400 8095242A
	v_mfma_f32_16x16x32_fp8_fp8 v[12:15], a[76:77], a[4:5], v[12:15]// 000000003574: D3F3000C 1C32094C
	v_mfma_f32_16x16x32_fp8_fp8 v[12:15], a[78:79], a[6:7], v[12:15]// 00000000357C: D3F3000C 1C320D4E
	ds_read_b128 a[24:27], v2 offset:4736                      // 000000003584: DBFE1280 18000002
	ds_read_b128 a[28:31], v2 offset:4800                      // 00000000358C: DBFE12C0 1C000002
	v_fma_f32 v80, v8, v4, v80                                 // 000000003594: D1CB0050 05420908
	v_fma_f32 v81, v9, v4, v81                                 // 00000000359C: D1CB0051 05460909
	v_fma_f32 v82, v10, v4, v82                                // 0000000035A4: D1CB0052 054A090A
	v_fma_f32 v83, v11, v4, v83                                // 0000000035AC: D1CB0053 054E090B
	v_mul_f32_dpp v6, v27, v32 row_newbcast:1 row_mask:0xf bank_mask:0xf// 0000000035B4: 0A0C40FA FF01511B
	v_mfma_f32_16x16x32_fp8_fp8 v[8:11], a[80:81], a[0:1], 0   // 0000000035BC: D3F30008 1A020150
	v_mfma_f32_16x16x32_fp8_fp8 v[8:11], a[82:83], a[2:3], v[8:11]// 0000000035C4: D3F30008 1C220552
	buffer_load_dwordx4 a[40:43], v43, s[84:87], 0 offen       // 0000000035CC: E05C1000 8095282B
	v_mfma_f32_16x16x32_fp8_fp8 v[8:11], a[84:85], a[4:5], v[8:11]// 0000000035D4: D3F30008 1C220954
	v_mfma_f32_16x16x32_fp8_fp8 v[8:11], a[86:87], a[6:7], v[8:11]// 0000000035DC: D3F30008 1C220D56
	v_fma_f32 v88, v12, v4, v88                                // 0000000035E4: D1CB0058 0562090C
	v_fma_f32 v89, v13, v4, v89                                // 0000000035EC: D1CB0059 0566090D
	v_fma_f32 v90, v14, v4, v90                                // 0000000035F4: D1CB005A 056A090E
	v_fma_f32 v91, v15, v4, v91                                // 0000000035FC: D1CB005B 056E090F
	v_mfma_f32_16x16x32_fp8_fp8 v[12:15], a[88:89], a[0:1], 0  // 000000003604: D3F3000C 1A020158
	v_mfma_f32_16x16x32_fp8_fp8 v[12:15], a[90:91], a[2:3], v[12:15]// 00000000360C: D3F3000C 1C32055A
	buffer_load_dwordx4 a[44:47], v43, s[84:87], 0 offen offset:1024// 000000003614: E05C1400 80952C2B
	v_mfma_f32_16x16x32_fp8_fp8 v[12:15], a[92:93], a[4:5], v[12:15]// 00000000361C: D3F3000C 1C32095C
	v_mfma_f32_16x16x32_fp8_fp8 v[12:15], a[94:95], a[6:7], v[12:15]// 000000003624: D3F3000C 1C320D5E
	v_fma_f32 v96, v8, v6, v96                                 // 00000000362C: D1CB0060 05820D08
	v_fma_f32 v97, v9, v6, v97                                 // 000000003634: D1CB0061 05860D09
	v_fma_f32 v98, v10, v6, v98                                // 00000000363C: D1CB0062 058A0D0A
	v_fma_f32 v99, v11, v6, v99                                // 000000003644: D1CB0063 058E0D0B
	v_mul_f32_dpp v4, v27, v33 row_newbcast:0 row_mask:0xf bank_mask:0xf// 00000000364C: 0A0842FA FF01501B
	v_mfma_f32_16x16x32_fp8_fp8 v[8:11], a[64:65], a[8:9], 0   // 000000003654: D3F30008 1A021140
	v_mfma_f32_16x16x32_fp8_fp8 v[8:11], a[66:67], a[10:11], v[8:11]// 00000000365C: D3F30008 1C221542
	buffer_load_dwordx4 a[48:51], v44, s[84:87], 0 offen       // 000000003664: E05C1000 8095302C
	v_mfma_f32_16x16x32_fp8_fp8 v[8:11], a[68:69], a[12:13], v[8:11]// 00000000366C: D3F30008 1C221944
	v_mfma_f32_16x16x32_fp8_fp8 v[8:11], a[70:71], a[14:15], v[8:11]// 000000003674: D3F30008 1C221D46
	v_fma_f32 v104, v12, v6, v104                              // 00000000367C: D1CB0068 05A20D0C
	v_fma_f32 v105, v13, v6, v105                              // 000000003684: D1CB0069 05A60D0D
	v_fma_f32 v106, v14, v6, v106                              // 00000000368C: D1CB006A 05AA0D0E
	v_fma_f32 v107, v15, v6, v107                              // 000000003694: D1CB006B 05AE0D0F
	v_mfma_f32_16x16x32_fp8_fp8 v[12:15], a[72:73], a[8:9], 0  // 00000000369C: D3F3000C 1A021148
	v_mfma_f32_16x16x32_fp8_fp8 v[12:15], a[74:75], a[10:11], v[12:15]// 0000000036A4: D3F3000C 1C32154A
	buffer_load_dwordx4 a[52:55], v44, s[84:87], 0 offen offset:1024// 0000000036AC: E05C1400 8095342C
	v_mfma_f32_16x16x32_fp8_fp8 v[12:15], a[76:77], a[12:13], v[12:15]// 0000000036B4: D3F3000C 1C32194C
	v_mfma_f32_16x16x32_fp8_fp8 v[12:15], a[78:79], a[14:15], v[12:15]// 0000000036BC: D3F3000C 1C321D4E
	v_fma_f32 v84, v8, v4, v84                                 // 0000000036C4: D1CB0054 05520908
	v_fma_f32 v85, v9, v4, v85                                 // 0000000036CC: D1CB0055 05560909
	v_fma_f32 v86, v10, v4, v86                                // 0000000036D4: D1CB0056 055A090A
	v_fma_f32 v87, v11, v4, v87                                // 0000000036DC: D1CB0057 055E090B
	v_mul_f32_dpp v6, v27, v33 row_newbcast:1 row_mask:0xf bank_mask:0xf// 0000000036E4: 0A0C42FA FF01511B
	v_mfma_f32_16x16x32_fp8_fp8 v[8:11], a[80:81], a[8:9], 0   // 0000000036EC: D3F30008 1A021150
	s_add_u32 s60, 0x180, s80                                  // 0000000036F4: 803C50FF 00000180
	s_cmp_lt_u32 s60, s81                                      // 0000000036FC: BF0A513C
	s_cselect_b32 s57, s57, 0                                  // 000000003700: 85398039
	s_cselect_b32 s3, s3, 0                                    // 000000003704: 85038003
	v_mfma_f32_16x16x32_fp8_fp8 v[8:11], a[82:83], a[10:11], v[8:11]// 000000003708: D3F30008 1C221552
	buffer_load_dwordx4 a[56:59], v45, s[84:87], 0 offen       // 000000003710: E05C1000 8095382D
	s_add_u32 s60, 0x100, s80                                  // 000000003718: 803C50FF 00000100
	s_cmp_lt_u32 s60, s81                                      // 000000003720: BF0A513C
	s_cselect_b32 s58, s58, 0                                  // 000000003724: 853A803A
	v_mfma_f32_16x16x32_fp8_fp8 v[8:11], a[84:85], a[12:13], v[8:11]// 000000003728: D3F30008 1C221954
	s_add_u32 s60, 0x100, s80                                  // 000000003730: 803C50FF 00000100
	s_cmp_lt_u32 s60, s81                                      // 000000003738: BF0A513C
	s_cselect_b32 s83, s83, 0                                  // 00000000373C: 85538053
	s_cselect_b32 s4, s4, 0                                    // 000000003740: 85048004
	v_mfma_f32_16x16x32_fp8_fp8 v[8:11], a[86:87], a[14:15], v[8:11]// 000000003744: D3F30008 1C221D56
	s_add_u32 s24, s58, s24                                    // 00000000374C: 8018183A
	s_addc_u32 s25, 0, s25                                     // 000000003750: 82191980
	v_fma_f32 v92, v12, v4, v92                                // 000000003754: D1CB005C 0572090C
	v_fma_f32 v93, v13, v4, v93                                // 00000000375C: D1CB005D 0576090D
	v_fma_f32 v94, v14, v4, v94                                // 000000003764: D1CB005E 057A090E
	v_fma_f32 v95, v15, v4, v95                                // 00000000376C: D1CB005F 057E090F
	v_mfma_f32_16x16x32_fp8_fp8 v[12:15], a[88:89], a[8:9], 0  // 000000003774: D3F3000C 1A021158
	s_add_u32 s20, s57, s20                                    // 00000000377C: 80141439
	s_addc_u32 s21, 0, s21                                     // 000000003780: 82151580
	s_add_u32 s28, s3, s28                                     // 000000003784: 801C1C03
	s_addc_u32 s29, 0, s29                                     // 000000003788: 821D1D80
	v_mfma_f32_16x16x32_fp8_fp8 v[12:15], a[90:91], a[10:11], v[12:15]// 00000000378C: D3F3000C 1C32155A
	buffer_load_dwordx4 a[60:63], v45, s[84:87], 0 offen offset:1024// 000000003794: E05C1400 80953C2D
	s_add_u32 s84, s83, s84                                    // 00000000379C: 80545453
	s_addc_u32 s85, 0, s85                                     // 0000000037A0: 82555580
	v_mfma_f32_16x16x32_fp8_fp8 v[12:15], a[92:93], a[12:13], v[12:15]// 0000000037A4: D3F3000C 1C32195C
	s_add_u32 s32, s4, s32                                     // 0000000037AC: 80202004
	s_addc_u32 s33, 0, s33                                     // 0000000037B0: 82212180
	v_mfma_f32_16x16x32_fp8_fp8 v[12:15], a[94:95], a[14:15], v[12:15]// 0000000037B4: D3F3000C 1C321D5E
	v_fma_f32 v100, v8, v6, v100                               // 0000000037BC: D1CB0064 05920D08
	v_fma_f32 v101, v9, v6, v101                               // 0000000037C4: D1CB0065 05960D09
	v_fma_f32 v102, v10, v6, v102                              // 0000000037CC: D1CB0066 059A0D0A
	v_fma_f32 v103, v11, v6, v103                              // 0000000037D4: D1CB0067 059E0D0B
	v_fma_f32 v108, v12, v6, v108                              // 0000000037DC: D1CB006C 05B20D0C
	v_fma_f32 v109, v13, v6, v109                              // 0000000037E4: D1CB006D 05B60D0D
	v_fma_f32 v110, v14, v6, v110                              // 0000000037EC: D1CB006E 05BA0D0E
	v_fma_f32 v111, v15, v6, v111                              // 0000000037F4: D1CB006F 05BE0D0F
	s_addk_i32 s80, 0x80                                       // 0000000037FC: B7500080
	s_cmp_lt_i32 s80, s81                                      // 000000003800: BF045150
	s_cbranch_scc0 label_0AA4                                  // 000000003804: BF840722
	s_waitcnt vmcnt(15) lgkmcnt(0)                             // 000000003808: BF8C007F
	v_mul_f32_dpp v4, v25, v34 row_newbcast:0 row_mask:0xf bank_mask:0xf// 00000000380C: 0A0844FA FF015019
	v_mfma_f32_16x16x32_fp8_fp8 v[8:11], a[96:97], a[16:17], 0 // 000000003814: D3F30008 1A022160
	buffer_load_dword v26, v22, s[32:35], 0 offen              // 00000000381C: E0501000 80081A16
	v_mfma_f32_16x16x32_fp8_fp8 v[8:11], a[98:99], a[18:19], v[8:11]// 000000003824: D3F30008 1C222562
	buffer_load_dwordx4 a[64:67], v42, s[24:27], 0 offen       // 00000000382C: E05C1000 8086402A
	v_mfma_f32_16x16x32_fp8_fp8 v[8:11], a[100:101], a[20:21], v[8:11]// 000000003834: D3F30008 1C222964
	v_mfma_f32_16x16x32_fp8_fp8 v[8:11], a[102:103], a[22:23], v[8:11]// 00000000383C: D3F30008 1C222D66
	v_mfma_f32_16x16x32_fp8_fp8 v[12:15], a[104:105], a[16:17], 0// 000000003844: D3F3000C 1A022168
	v_mfma_f32_16x16x32_fp8_fp8 v[12:15], a[106:107], a[18:19], v[12:15]// 00000000384C: D3F3000C 1C32256A
	buffer_load_dwordx4 a[68:71], v42, s[24:27], 0 offen offset:1024// 000000003854: E05C1400 8086442A
	v_mfma_f32_16x16x32_fp8_fp8 v[12:15], a[108:109], a[20:21], v[12:15]// 00000000385C: D3F3000C 1C32296C
	v_mfma_f32_16x16x32_fp8_fp8 v[12:15], a[110:111], a[22:23], v[12:15]// 000000003864: D3F3000C 1C322D6E
	v_fma_f32 v48, v8, v4, v48                                 // 00000000386C: D1CB0030 04C20908
	v_fma_f32 v49, v9, v4, v49                                 // 000000003874: D1CB0031 04C60909
	v_fma_f32 v50, v10, v4, v50                                // 00000000387C: D1CB0032 04CA090A
	v_fma_f32 v51, v11, v4, v51                                // 000000003884: D1CB0033 04CE090B
	v_mul_f32_dpp v6, v25, v34 row_newbcast:1 row_mask:0xf bank_mask:0xf// 00000000388C: 0A0C44FA FF015119
	v_mfma_f32_16x16x32_fp8_fp8 v[8:11], a[112:113], a[16:17], 0// 000000003894: D3F30008 1A022170
	v_mfma_f32_16x16x32_fp8_fp8 v[8:11], a[114:115], a[18:19], v[8:11]// 00000000389C: D3F30008 1C222572
	buffer_load_dwordx4 a[72:75], v43, s[24:27], 0 offen       // 0000000038A4: E05C1000 8086482B
	v_mfma_f32_16x16x32_fp8_fp8 v[8:11], a[116:117], a[20:21], v[8:11]// 0000000038AC: D3F30008 1C222974
	v_mfma_f32_16x16x32_fp8_fp8 v[8:11], a[118:119], a[22:23], v[8:11]// 0000000038B4: D3F30008 1C222D76
	v_fma_f32 v56, v12, v4, v56                                // 0000000038BC: D1CB0038 04E2090C
	v_fma_f32 v57, v13, v4, v57                                // 0000000038C4: D1CB0039 04E6090D
	v_fma_f32 v58, v14, v4, v58                                // 0000000038CC: D1CB003A 04EA090E
	v_fma_f32 v59, v15, v4, v59                                // 0000000038D4: D1CB003B 04EE090F
	v_mfma_f32_16x16x32_fp8_fp8 v[12:15], a[120:121], a[16:17], 0// 0000000038DC: D3F3000C 1A022178
	v_mfma_f32_16x16x32_fp8_fp8 v[12:15], a[122:123], a[18:19], v[12:15]// 0000000038E4: D3F3000C 1C32257A
	buffer_load_dwordx4 a[76:79], v43, s[24:27], 0 offen offset:1024// 0000000038EC: E05C1400 80864C2B
	v_mfma_f32_16x16x32_fp8_fp8 v[12:15], a[124:125], a[20:21], v[12:15]// 0000000038F4: D3F3000C 1C32297C
	v_mfma_f32_16x16x32_fp8_fp8 v[12:15], a[126:127], a[22:23], v[12:15]// 0000000038FC: D3F3000C 1C322D7E
	v_fma_f32 v64, v8, v6, v64                                 // 000000003904: D1CB0040 05020D08
	v_fma_f32 v65, v9, v6, v65                                 // 00000000390C: D1CB0041 05060D09
	v_fma_f32 v66, v10, v6, v66                                // 000000003914: D1CB0042 050A0D0A
	v_fma_f32 v67, v11, v6, v67                                // 00000000391C: D1CB0043 050E0D0B
	v_mul_f32_dpp v4, v25, v35 row_newbcast:0 row_mask:0xf bank_mask:0xf// 000000003924: 0A0846FA FF015019
	v_mfma_f32_16x16x32_fp8_fp8 v[8:11], a[96:97], a[24:25], 0 // 00000000392C: D3F30008 1A023160
	v_mfma_f32_16x16x32_fp8_fp8 v[8:11], a[98:99], a[26:27], v[8:11]// 000000003934: D3F30008 1C223562
	buffer_load_dwordx4 a[80:83], v44, s[24:27], 0 offen       // 00000000393C: E05C1000 8086502C
	v_mfma_f32_16x16x32_fp8_fp8 v[8:11], a[100:101], a[28:29], v[8:11]// 000000003944: D3F30008 1C223964
	v_mfma_f32_16x16x32_fp8_fp8 v[8:11], a[102:103], a[30:31], v[8:11]// 00000000394C: D3F30008 1C223D66
	v_fma_f32 v72, v12, v6, v72                                // 000000003954: D1CB0048 05220D0C
	v_fma_f32 v73, v13, v6, v73                                // 00000000395C: D1CB0049 05260D0D
	v_fma_f32 v74, v14, v6, v74                                // 000000003964: D1CB004A 052A0D0E
	v_fma_f32 v75, v15, v6, v75                                // 00000000396C: D1CB004B 052E0D0F
	v_mfma_f32_16x16x32_fp8_fp8 v[12:15], a[104:105], a[24:25], 0// 000000003974: D3F3000C 1A023168
	v_mfma_f32_16x16x32_fp8_fp8 v[12:15], a[106:107], a[26:27], v[12:15]// 00000000397C: D3F3000C 1C32356A
	buffer_load_dwordx4 a[84:87], v44, s[24:27], 0 offen offset:1024// 000000003984: E05C1400 8086542C
	v_mfma_f32_16x16x32_fp8_fp8 v[12:15], a[108:109], a[28:29], v[12:15]// 00000000398C: D3F3000C 1C32396C
	v_mfma_f32_16x16x32_fp8_fp8 v[12:15], a[110:111], a[30:31], v[12:15]// 000000003994: D3F3000C 1C323D6E
	v_fma_f32 v52, v8, v4, v52                                 // 00000000399C: D1CB0034 04D20908
	v_fma_f32 v53, v9, v4, v53                                 // 0000000039A4: D1CB0035 04D60909
	v_fma_f32 v54, v10, v4, v54                                // 0000000039AC: D1CB0036 04DA090A
	v_fma_f32 v55, v11, v4, v55                                // 0000000039B4: D1CB0037 04DE090B
	v_mul_f32_dpp v6, v25, v35 row_newbcast:1 row_mask:0xf bank_mask:0xf// 0000000039BC: 0A0C46FA FF015119
	v_mfma_f32_16x16x32_fp8_fp8 v[8:11], a[112:113], a[24:25], 0// 0000000039C4: D3F30008 1A023170
	v_mfma_f32_16x16x32_fp8_fp8 v[8:11], a[114:115], a[26:27], v[8:11]// 0000000039CC: D3F30008 1C223572
	buffer_load_dwordx4 a[88:91], v45, s[24:27], 0 offen       // 0000000039D4: E05C1000 8086582D
	v_mfma_f32_16x16x32_fp8_fp8 v[8:11], a[116:117], a[28:29], v[8:11]// 0000000039DC: D3F30008 1C223974
	v_mfma_f32_16x16x32_fp8_fp8 v[8:11], a[118:119], a[30:31], v[8:11]// 0000000039E4: D3F30008 1C223D76
	v_fma_f32 v60, v12, v4, v60                                // 0000000039EC: D1CB003C 04F2090C
	v_fma_f32 v61, v13, v4, v61                                // 0000000039F4: D1CB003D 04F6090D
	v_fma_f32 v62, v14, v4, v62                                // 0000000039FC: D1CB003E 04FA090E
	v_fma_f32 v63, v15, v4, v63                                // 000000003A04: D1CB003F 04FE090F
	v_mfma_f32_16x16x32_fp8_fp8 v[12:15], a[120:121], a[24:25], 0// 000000003A0C: D3F3000C 1A023178
	v_mfma_f32_16x16x32_fp8_fp8 v[12:15], a[122:123], a[26:27], v[12:15]// 000000003A14: D3F3000C 1C32357A
	buffer_load_dwordx4 a[92:95], v45, s[24:27], 0 offen offset:1024// 000000003A1C: E05C1400 80865C2D
	buffer_load_dword v38, s[20:23], 0 offen lds               // 000000003A24: E0511000 80050026
	s_add_u32 m0, 0x100, s48                                   // 000000003A2C: 807C30FF 00000100
	v_mfma_f32_16x16x32_fp8_fp8 v[12:15], a[124:125], a[28:29], v[12:15]// 000000003A34: D3F3000C 1C32397C
	v_mfma_f32_16x16x32_fp8_fp8 v[12:15], a[126:127], a[30:31], v[12:15]// 000000003A3C: D3F3000C 1C323D7E
	buffer_load_dword v39, s[20:23], 0 offen lds               // 000000003A44: E0511000 80050027
	s_add_u32 m0, 0x200, s48                                   // 000000003A4C: 807C30FF 00000200
	v_fma_f32 v68, v8, v6, v68                                 // 000000003A54: D1CB0044 05120D08
	v_fma_f32 v69, v9, v6, v69                                 // 000000003A5C: D1CB0045 05160D09
	v_fma_f32 v70, v10, v6, v70                                // 000000003A64: D1CB0046 051A0D0A
	v_fma_f32 v71, v11, v6, v71                                // 000000003A6C: D1CB0047 051E0D0B
	v_fma_f32 v76, v12, v6, v76                                // 000000003A74: D1CB004C 05320D0C
	v_fma_f32 v77, v13, v6, v77                                // 000000003A7C: D1CB004D 05360D0D
	v_fma_f32 v78, v14, v6, v78                                // 000000003A84: D1CB004E 053A0D0E
	v_fma_f32 v79, v15, v6, v79                                // 000000003A8C: D1CB004F 053E0D0F
	buffer_load_dword v40, s[20:23], 0 offen lds               // 000000003A94: E0511000 80050028
	s_add_u32 m0, 0x300, s48                                   // 000000003A9C: 807C30FF 00000300
	buffer_load_dword v41, s[20:23], 0 offen lds               // 000000003AA4: E0511000 80050029
	s_add_u32 m0, 0, s49                                       // 000000003AAC: 807C3180
	buffer_load_dword v32, v30, s[28:31], 0 offen              // 000000003AB0: E0501000 8007201E
	buffer_load_dword v33, v31, s[28:31], 0 offen              // 000000003AB8: E0501000 8007211F
	s_waitcnt vmcnt(15)                                        // 000000003AC0: BF8C0F7F
	s_barrier                                                  // 000000003AC4: BF8A0000
	v_mul_f32_dpp v4, v28, v34 row_newbcast:0 row_mask:0xf bank_mask:0xf// 000000003AC8: 0A0844FA FF01501C
	v_mfma_f32_16x16x32_fp8_fp8 v[8:11], a[32:33], a[16:17], 0 // 000000003AD0: D3F30008 1A022120
	buffer_load_dword v29, v23, s[32:35], 0 offen              // 000000003AD8: E0501000 80081D17
	v_mfma_f32_16x16x32_fp8_fp8 v[8:11], a[34:35], a[18:19], v[8:11]// 000000003AE0: D3F30008 1C222522
	buffer_load_dwordx4 a[96:99], v42, s[84:87], 0 offen       // 000000003AE8: E05C1000 8095602A
	v_mfma_f32_16x16x32_fp8_fp8 v[8:11], a[36:37], a[20:21], v[8:11]// 000000003AF0: D3F30008 1C222924
	v_mfma_f32_16x16x32_fp8_fp8 v[8:11], a[38:39], a[22:23], v[8:11]// 000000003AF8: D3F30008 1C222D26
	ds_read_b128 a[0:3], v2 offset:8448                        // 000000003B00: DBFE2100 00000002
	ds_read_b128 a[4:7], v2 offset:8512                        // 000000003B08: DBFE2140 04000002
	v_mfma_f32_16x16x32_fp8_fp8 v[12:15], a[40:41], a[16:17], 0// 000000003B10: D3F3000C 1A022128
	v_mfma_f32_16x16x32_fp8_fp8 v[12:15], a[42:43], a[18:19], v[12:15]// 000000003B18: D3F3000C 1C32252A
	buffer_load_dwordx4 a[100:103], v42, s[84:87], 0 offen offset:1024// 000000003B20: E05C1400 8095642A
	v_mfma_f32_16x16x32_fp8_fp8 v[12:15], a[44:45], a[20:21], v[12:15]// 000000003B28: D3F3000C 1C32292C
	v_mfma_f32_16x16x32_fp8_fp8 v[12:15], a[46:47], a[22:23], v[12:15]// 000000003B30: D3F3000C 1C322D2E
	ds_read_b128 a[8:11], v2 offset:8960                       // 000000003B38: DBFE2300 08000002
	ds_read_b128 a[12:15], v2 offset:9024                      // 000000003B40: DBFE2340 0C000002
	v_fma_f32 v80, v8, v4, v80                                 // 000000003B48: D1CB0050 05420908
	v_fma_f32 v81, v9, v4, v81                                 // 000000003B50: D1CB0051 05460909
	v_fma_f32 v82, v10, v4, v82                                // 000000003B58: D1CB0052 054A090A
	v_fma_f32 v83, v11, v4, v83                                // 000000003B60: D1CB0053 054E090B
	v_mul_f32_dpp v6, v28, v34 row_newbcast:1 row_mask:0xf bank_mask:0xf// 000000003B68: 0A0C44FA FF01511C
	v_mfma_f32_16x16x32_fp8_fp8 v[8:11], a[48:49], a[16:17], 0 // 000000003B70: D3F30008 1A022130
	v_mfma_f32_16x16x32_fp8_fp8 v[8:11], a[50:51], a[18:19], v[8:11]// 000000003B78: D3F30008 1C222532
	buffer_load_dwordx4 a[104:107], v43, s[84:87], 0 offen     // 000000003B80: E05C1000 8095682B
	v_mfma_f32_16x16x32_fp8_fp8 v[8:11], a[52:53], a[20:21], v[8:11]// 000000003B88: D3F30008 1C222934
	v_mfma_f32_16x16x32_fp8_fp8 v[8:11], a[54:55], a[22:23], v[8:11]// 000000003B90: D3F30008 1C222D36
	v_fma_f32 v88, v12, v4, v88                                // 000000003B98: D1CB0058 0562090C
	v_fma_f32 v89, v13, v4, v89                                // 000000003BA0: D1CB0059 0566090D
	v_fma_f32 v90, v14, v4, v90                                // 000000003BA8: D1CB005A 056A090E
	v_fma_f32 v91, v15, v4, v91                                // 000000003BB0: D1CB005B 056E090F
	v_mfma_f32_16x16x32_fp8_fp8 v[12:15], a[56:57], a[16:17], 0// 000000003BB8: D3F3000C 1A022138
	v_mfma_f32_16x16x32_fp8_fp8 v[12:15], a[58:59], a[18:19], v[12:15]// 000000003BC0: D3F3000C 1C32253A
	buffer_load_dwordx4 a[108:111], v43, s[84:87], 0 offen offset:1024// 000000003BC8: E05C1400 80956C2B
	v_mfma_f32_16x16x32_fp8_fp8 v[12:15], a[60:61], a[20:21], v[12:15]// 000000003BD0: D3F3000C 1C32293C
	v_mfma_f32_16x16x32_fp8_fp8 v[12:15], a[62:63], a[22:23], v[12:15]// 000000003BD8: D3F3000C 1C322D3E
	v_fma_f32 v96, v8, v6, v96                                 // 000000003BE0: D1CB0060 05820D08
	v_fma_f32 v97, v9, v6, v97                                 // 000000003BE8: D1CB0061 05860D09
	v_fma_f32 v98, v10, v6, v98                                // 000000003BF0: D1CB0062 058A0D0A
	v_fma_f32 v99, v11, v6, v99                                // 000000003BF8: D1CB0063 058E0D0B
	v_mul_f32_dpp v4, v28, v35 row_newbcast:0 row_mask:0xf bank_mask:0xf// 000000003C00: 0A0846FA FF01501C
	v_mfma_f32_16x16x32_fp8_fp8 v[8:11], a[32:33], a[24:25], 0 // 000000003C08: D3F30008 1A023120
	v_mfma_f32_16x16x32_fp8_fp8 v[8:11], a[34:35], a[26:27], v[8:11]// 000000003C10: D3F30008 1C223522
	buffer_load_dwordx4 a[112:115], v44, s[84:87], 0 offen     // 000000003C18: E05C1000 8095702C
	v_mfma_f32_16x16x32_fp8_fp8 v[8:11], a[36:37], a[28:29], v[8:11]// 000000003C20: D3F30008 1C223924
	v_mfma_f32_16x16x32_fp8_fp8 v[8:11], a[38:39], a[30:31], v[8:11]// 000000003C28: D3F30008 1C223D26
	v_fma_f32 v104, v12, v6, v104                              // 000000003C30: D1CB0068 05A20D0C
	v_fma_f32 v105, v13, v6, v105                              // 000000003C38: D1CB0069 05A60D0D
	v_fma_f32 v106, v14, v6, v106                              // 000000003C40: D1CB006A 05AA0D0E
	v_fma_f32 v107, v15, v6, v107                              // 000000003C48: D1CB006B 05AE0D0F
	v_mfma_f32_16x16x32_fp8_fp8 v[12:15], a[40:41], a[24:25], 0// 000000003C50: D3F3000C 1A023128
	v_mfma_f32_16x16x32_fp8_fp8 v[12:15], a[42:43], a[26:27], v[12:15]// 000000003C58: D3F3000C 1C32352A
	buffer_load_dwordx4 a[116:119], v44, s[84:87], 0 offen offset:1024// 000000003C60: E05C1400 8095742C
	v_mfma_f32_16x16x32_fp8_fp8 v[12:15], a[44:45], a[28:29], v[12:15]// 000000003C68: D3F3000C 1C32392C
	v_mfma_f32_16x16x32_fp8_fp8 v[12:15], a[46:47], a[30:31], v[12:15]// 000000003C70: D3F3000C 1C323D2E
	v_fma_f32 v84, v8, v4, v84                                 // 000000003C78: D1CB0054 05520908
	v_fma_f32 v85, v9, v4, v85                                 // 000000003C80: D1CB0055 05560909
	v_fma_f32 v86, v10, v4, v86                                // 000000003C88: D1CB0056 055A090A
	v_fma_f32 v87, v11, v4, v87                                // 000000003C90: D1CB0057 055E090B
	v_mul_f32_dpp v6, v28, v35 row_newbcast:1 row_mask:0xf bank_mask:0xf// 000000003C98: 0A0C46FA FF01511C
	v_mfma_f32_16x16x32_fp8_fp8 v[8:11], a[48:49], a[24:25], 0 // 000000003CA0: D3F30008 1A023130
	s_add_u32 s60, 0x180, s80                                  // 000000003CA8: 803C50FF 00000180
	s_cmp_lt_u32 s60, s81                                      // 000000003CB0: BF0A513C
	s_cselect_b32 s57, s57, 0                                  // 000000003CB4: 85398039
	s_cselect_b32 s3, s3, 0                                    // 000000003CB8: 85038003
	v_mfma_f32_16x16x32_fp8_fp8 v[8:11], a[50:51], a[26:27], v[8:11]// 000000003CBC: D3F30008 1C223532
	buffer_load_dwordx4 a[120:123], v45, s[84:87], 0 offen     // 000000003CC4: E05C1000 8095782D
	s_add_u32 s60, 0x100, s80                                  // 000000003CCC: 803C50FF 00000100
	s_cmp_lt_u32 s60, s81                                      // 000000003CD4: BF0A513C
	s_cselect_b32 s58, s58, 0                                  // 000000003CD8: 853A803A
	v_mfma_f32_16x16x32_fp8_fp8 v[8:11], a[52:53], a[28:29], v[8:11]// 000000003CDC: D3F30008 1C223934
	s_add_u32 s60, 0x100, s80                                  // 000000003CE4: 803C50FF 00000100
	s_cmp_lt_u32 s60, s81                                      // 000000003CEC: BF0A513C
	s_cselect_b32 s83, s83, 0                                  // 000000003CF0: 85538053
	s_cselect_b32 s4, s4, 0                                    // 000000003CF4: 85048004
	v_mfma_f32_16x16x32_fp8_fp8 v[8:11], a[54:55], a[30:31], v[8:11]// 000000003CF8: D3F30008 1C223D36
	s_add_u32 s24, s58, s24                                    // 000000003D00: 8018183A
	s_addc_u32 s25, 0, s25                                     // 000000003D04: 82191980
	v_fma_f32 v92, v12, v4, v92                                // 000000003D08: D1CB005C 0572090C
	v_fma_f32 v93, v13, v4, v93                                // 000000003D10: D1CB005D 0576090D
	v_fma_f32 v94, v14, v4, v94                                // 000000003D18: D1CB005E 057A090E
	v_fma_f32 v95, v15, v4, v95                                // 000000003D20: D1CB005F 057E090F
	v_mfma_f32_16x16x32_fp8_fp8 v[12:15], a[56:57], a[24:25], 0// 000000003D28: D3F3000C 1A023138
	s_add_u32 s20, s57, s20                                    // 000000003D30: 80141439
	s_addc_u32 s21, 0, s21                                     // 000000003D34: 82151580
	s_add_u32 s28, s3, s28                                     // 000000003D38: 801C1C03
	s_addc_u32 s29, 0, s29                                     // 000000003D3C: 821D1D80
	v_mfma_f32_16x16x32_fp8_fp8 v[12:15], a[58:59], a[26:27], v[12:15]// 000000003D40: D3F3000C 1C32353A
	buffer_load_dwordx4 a[124:127], v45, s[84:87], 0 offen offset:1024// 000000003D48: E05C1400 80957C2D
	s_add_u32 s84, s83, s84                                    // 000000003D50: 80545453
	s_addc_u32 s85, 0, s85                                     // 000000003D54: 82555580
	v_mfma_f32_16x16x32_fp8_fp8 v[12:15], a[60:61], a[28:29], v[12:15]// 000000003D58: D3F3000C 1C32393C
	s_add_u32 s32, s4, s32                                     // 000000003D60: 80202004
	s_addc_u32 s33, 0, s33                                     // 000000003D64: 82212180
	v_mfma_f32_16x16x32_fp8_fp8 v[12:15], a[62:63], a[30:31], v[12:15]// 000000003D68: D3F3000C 1C323D3E
	v_fma_f32 v100, v8, v6, v100                               // 000000003D70: D1CB0064 05920D08
	v_fma_f32 v101, v9, v6, v101                               // 000000003D78: D1CB0065 05960D09
	v_fma_f32 v102, v10, v6, v102                              // 000000003D80: D1CB0066 059A0D0A
	v_fma_f32 v103, v11, v6, v103                              // 000000003D88: D1CB0067 059E0D0B
	v_fma_f32 v108, v12, v6, v108                              // 000000003D90: D1CB006C 05B20D0C
	v_fma_f32 v109, v13, v6, v109                              // 000000003D98: D1CB006D 05B60D0D
	v_fma_f32 v110, v14, v6, v110                              // 000000003DA0: D1CB006E 05BA0D0E
	v_fma_f32 v111, v15, v6, v111                              // 000000003DA8: D1CB006F 05BE0D0F
	s_addk_i32 s80, 0x80                                       // 000000003DB0: B7500080
	s_cmp_lt_i32 s80, s81                                      // 000000003DB4: BF045150
	s_cbranch_scc0 label_0AA4                                  // 000000003DB8: BF8405B5
	s_waitcnt vmcnt(15) lgkmcnt(0)                             // 000000003DBC: BF8C007F
	v_mul_f32_dpp v4, v26, v36 row_newbcast:0 row_mask:0xf bank_mask:0xf// 000000003DC0: 0A0848FA FF01501A
	v_mfma_f32_16x16x32_fp8_fp8 v[8:11], a[64:65], a[0:1], 0   // 000000003DC8: D3F30008 1A020140
	buffer_load_dword v24, v22, s[32:35], 0 offen              // 000000003DD0: E0501000 80081816
	v_mfma_f32_16x16x32_fp8_fp8 v[8:11], a[66:67], a[2:3], v[8:11]// 000000003DD8: D3F30008 1C220542
	buffer_load_dwordx4 a[32:35], v42, s[24:27], 0 offen       // 000000003DE0: E05C1000 8086202A
	v_mfma_f32_16x16x32_fp8_fp8 v[8:11], a[68:69], a[4:5], v[8:11]// 000000003DE8: D3F30008 1C220944
	v_mfma_f32_16x16x32_fp8_fp8 v[8:11], a[70:71], a[6:7], v[8:11]// 000000003DF0: D3F30008 1C220D46
	v_mfma_f32_16x16x32_fp8_fp8 v[12:15], a[72:73], a[0:1], 0  // 000000003DF8: D3F3000C 1A020148
	v_mfma_f32_16x16x32_fp8_fp8 v[12:15], a[74:75], a[2:3], v[12:15]// 000000003E00: D3F3000C 1C32054A
	buffer_load_dwordx4 a[36:39], v42, s[24:27], 0 offen offset:1024// 000000003E08: E05C1400 8086242A
	v_mfma_f32_16x16x32_fp8_fp8 v[12:15], a[76:77], a[4:5], v[12:15]// 000000003E10: D3F3000C 1C32094C
	v_mfma_f32_16x16x32_fp8_fp8 v[12:15], a[78:79], a[6:7], v[12:15]// 000000003E18: D3F3000C 1C320D4E
	v_fma_f32 v48, v8, v4, v48                                 // 000000003E20: D1CB0030 04C20908
	v_fma_f32 v49, v9, v4, v49                                 // 000000003E28: D1CB0031 04C60909
	v_fma_f32 v50, v10, v4, v50                                // 000000003E30: D1CB0032 04CA090A
	v_fma_f32 v51, v11, v4, v51                                // 000000003E38: D1CB0033 04CE090B
	v_mul_f32_dpp v6, v26, v36 row_newbcast:1 row_mask:0xf bank_mask:0xf// 000000003E40: 0A0C48FA FF01511A
	v_mfma_f32_16x16x32_fp8_fp8 v[8:11], a[80:81], a[0:1], 0   // 000000003E48: D3F30008 1A020150
	v_mfma_f32_16x16x32_fp8_fp8 v[8:11], a[82:83], a[2:3], v[8:11]// 000000003E50: D3F30008 1C220552
	buffer_load_dwordx4 a[40:43], v43, s[24:27], 0 offen       // 000000003E58: E05C1000 8086282B
	v_mfma_f32_16x16x32_fp8_fp8 v[8:11], a[84:85], a[4:5], v[8:11]// 000000003E60: D3F30008 1C220954
	v_mfma_f32_16x16x32_fp8_fp8 v[8:11], a[86:87], a[6:7], v[8:11]// 000000003E68: D3F30008 1C220D56
	v_fma_f32 v56, v12, v4, v56                                // 000000003E70: D1CB0038 04E2090C
	v_fma_f32 v57, v13, v4, v57                                // 000000003E78: D1CB0039 04E6090D
	v_fma_f32 v58, v14, v4, v58                                // 000000003E80: D1CB003A 04EA090E
	v_fma_f32 v59, v15, v4, v59                                // 000000003E88: D1CB003B 04EE090F
	v_mfma_f32_16x16x32_fp8_fp8 v[12:15], a[88:89], a[0:1], 0  // 000000003E90: D3F3000C 1A020158
	v_mfma_f32_16x16x32_fp8_fp8 v[12:15], a[90:91], a[2:3], v[12:15]// 000000003E98: D3F3000C 1C32055A
	buffer_load_dwordx4 a[44:47], v43, s[24:27], 0 offen offset:1024// 000000003EA0: E05C1400 80862C2B
	v_mfma_f32_16x16x32_fp8_fp8 v[12:15], a[92:93], a[4:5], v[12:15]// 000000003EA8: D3F3000C 1C32095C
	v_mfma_f32_16x16x32_fp8_fp8 v[12:15], a[94:95], a[6:7], v[12:15]// 000000003EB0: D3F3000C 1C320D5E
	v_fma_f32 v64, v8, v6, v64                                 // 000000003EB8: D1CB0040 05020D08
	v_fma_f32 v65, v9, v6, v65                                 // 000000003EC0: D1CB0041 05060D09
	v_fma_f32 v66, v10, v6, v66                                // 000000003EC8: D1CB0042 050A0D0A
	v_fma_f32 v67, v11, v6, v67                                // 000000003ED0: D1CB0043 050E0D0B
	v_mul_f32_dpp v4, v26, v37 row_newbcast:0 row_mask:0xf bank_mask:0xf// 000000003ED8: 0A084AFA FF01501A
	v_mfma_f32_16x16x32_fp8_fp8 v[8:11], a[64:65], a[8:9], 0   // 000000003EE0: D3F30008 1A021140
	v_mfma_f32_16x16x32_fp8_fp8 v[8:11], a[66:67], a[10:11], v[8:11]// 000000003EE8: D3F30008 1C221542
	buffer_load_dwordx4 a[48:51], v44, s[24:27], 0 offen       // 000000003EF0: E05C1000 8086302C
	v_mfma_f32_16x16x32_fp8_fp8 v[8:11], a[68:69], a[12:13], v[8:11]// 000000003EF8: D3F30008 1C221944
	v_mfma_f32_16x16x32_fp8_fp8 v[8:11], a[70:71], a[14:15], v[8:11]// 000000003F00: D3F30008 1C221D46
	v_fma_f32 v72, v12, v6, v72                                // 000000003F08: D1CB0048 05220D0C
	v_fma_f32 v73, v13, v6, v73                                // 000000003F10: D1CB0049 05260D0D
	v_fma_f32 v74, v14, v6, v74                                // 000000003F18: D1CB004A 052A0D0E
	v_fma_f32 v75, v15, v6, v75                                // 000000003F20: D1CB004B 052E0D0F
	v_mfma_f32_16x16x32_fp8_fp8 v[12:15], a[72:73], a[8:9], 0  // 000000003F28: D3F3000C 1A021148
	v_mfma_f32_16x16x32_fp8_fp8 v[12:15], a[74:75], a[10:11], v[12:15]// 000000003F30: D3F3000C 1C32154A
	buffer_load_dwordx4 a[52:55], v44, s[24:27], 0 offen offset:1024// 000000003F38: E05C1400 8086342C
	v_mfma_f32_16x16x32_fp8_fp8 v[12:15], a[76:77], a[12:13], v[12:15]// 000000003F40: D3F3000C 1C32194C
	v_mfma_f32_16x16x32_fp8_fp8 v[12:15], a[78:79], a[14:15], v[12:15]// 000000003F48: D3F3000C 1C321D4E
	v_fma_f32 v52, v8, v4, v52                                 // 000000003F50: D1CB0034 04D20908
	v_fma_f32 v53, v9, v4, v53                                 // 000000003F58: D1CB0035 04D60909
	v_fma_f32 v54, v10, v4, v54                                // 000000003F60: D1CB0036 04DA090A
	v_fma_f32 v55, v11, v4, v55                                // 000000003F68: D1CB0037 04DE090B
	v_mul_f32_dpp v6, v26, v37 row_newbcast:1 row_mask:0xf bank_mask:0xf// 000000003F70: 0A0C4AFA FF01511A
	v_mfma_f32_16x16x32_fp8_fp8 v[8:11], a[80:81], a[8:9], 0   // 000000003F78: D3F30008 1A021150
	v_mfma_f32_16x16x32_fp8_fp8 v[8:11], a[82:83], a[10:11], v[8:11]// 000000003F80: D3F30008 1C221552
	buffer_load_dwordx4 a[56:59], v45, s[24:27], 0 offen       // 000000003F88: E05C1000 8086382D
	v_mfma_f32_16x16x32_fp8_fp8 v[8:11], a[84:85], a[12:13], v[8:11]// 000000003F90: D3F30008 1C221954
	v_mfma_f32_16x16x32_fp8_fp8 v[8:11], a[86:87], a[14:15], v[8:11]// 000000003F98: D3F30008 1C221D56
	v_fma_f32 v60, v12, v4, v60                                // 000000003FA0: D1CB003C 04F2090C
	v_fma_f32 v61, v13, v4, v61                                // 000000003FA8: D1CB003D 04F6090D
	v_fma_f32 v62, v14, v4, v62                                // 000000003FB0: D1CB003E 04FA090E
	v_fma_f32 v63, v15, v4, v63                                // 000000003FB8: D1CB003F 04FE090F
	v_mfma_f32_16x16x32_fp8_fp8 v[12:15], a[88:89], a[8:9], 0  // 000000003FC0: D3F3000C 1A021158
	v_mfma_f32_16x16x32_fp8_fp8 v[12:15], a[90:91], a[10:11], v[12:15]// 000000003FC8: D3F3000C 1C32155A
	buffer_load_dwordx4 a[60:63], v45, s[24:27], 0 offen offset:1024// 000000003FD0: E05C1400 80863C2D
	buffer_load_dword v38, s[20:23], 0 offen lds               // 000000003FD8: E0511000 80050026
	s_add_u32 m0, 0x100, s49                                   // 000000003FE0: 807C31FF 00000100
	v_mfma_f32_16x16x32_fp8_fp8 v[12:15], a[92:93], a[12:13], v[12:15]// 000000003FE8: D3F3000C 1C32195C
	v_mfma_f32_16x16x32_fp8_fp8 v[12:15], a[94:95], a[14:15], v[12:15]// 000000003FF0: D3F3000C 1C321D5E
	buffer_load_dword v39, s[20:23], 0 offen lds               // 000000003FF8: E0511000 80050027
	s_add_u32 m0, 0x200, s49                                   // 000000004000: 807C31FF 00000200
	v_fma_f32 v68, v8, v6, v68                                 // 000000004008: D1CB0044 05120D08
	v_fma_f32 v69, v9, v6, v69                                 // 000000004010: D1CB0045 05160D09
	v_fma_f32 v70, v10, v6, v70                                // 000000004018: D1CB0046 051A0D0A
	v_fma_f32 v71, v11, v6, v71                                // 000000004020: D1CB0047 051E0D0B
	v_fma_f32 v76, v12, v6, v76                                // 000000004028: D1CB004C 05320D0C
	v_fma_f32 v77, v13, v6, v77                                // 000000004030: D1CB004D 05360D0D
	v_fma_f32 v78, v14, v6, v78                                // 000000004038: D1CB004E 053A0D0E
	v_fma_f32 v79, v15, v6, v79                                // 000000004040: D1CB004F 053E0D0F
	buffer_load_dword v40, s[20:23], 0 offen lds               // 000000004048: E0511000 80050028
	s_add_u32 m0, 0x300, s49                                   // 000000004050: 807C31FF 00000300
	buffer_load_dword v41, s[20:23], 0 offen lds               // 000000004058: E0511000 80050029
	s_add_u32 m0, 0, s50                                       // 000000004060: 807C3280
	buffer_load_dword v34, v30, s[28:31], 0 offen              // 000000004064: E0501000 8007221E
	buffer_load_dword v35, v31, s[28:31], 0 offen              // 00000000406C: E0501000 8007231F
	s_waitcnt vmcnt(15)                                        // 000000004074: BF8C0F7F
	s_barrier                                                  // 000000004078: BF8A0000
	v_mul_f32_dpp v4, v29, v36 row_newbcast:0 row_mask:0xf bank_mask:0xf// 00000000407C: 0A0848FA FF01501D
	v_mfma_f32_16x16x32_fp8_fp8 v[8:11], a[96:97], a[0:1], 0   // 000000004084: D3F30008 1A020160
	buffer_load_dword v27, v23, s[32:35], 0 offen              // 00000000408C: E0501000 80081B17
	v_mfma_f32_16x16x32_fp8_fp8 v[8:11], a[98:99], a[2:3], v[8:11]// 000000004094: D3F30008 1C220562
	buffer_load_dwordx4 a[64:67], v42, s[84:87], 0 offen       // 00000000409C: E05C1000 8095402A
	v_mfma_f32_16x16x32_fp8_fp8 v[8:11], a[100:101], a[4:5], v[8:11]// 0000000040A4: D3F30008 1C220964
	v_mfma_f32_16x16x32_fp8_fp8 v[8:11], a[102:103], a[6:7], v[8:11]// 0000000040AC: D3F30008 1C220D66
	ds_read_b128 a[16:19], v2                                  // 0000000040B4: DBFE0000 10000002
	ds_read_b128 a[20:23], v2 offset:64                        // 0000000040BC: DBFE0040 14000002
	v_mfma_f32_16x16x32_fp8_fp8 v[12:15], a[104:105], a[0:1], 0// 0000000040C4: D3F3000C 1A020168
	v_mfma_f32_16x16x32_fp8_fp8 v[12:15], a[106:107], a[2:3], v[12:15]// 0000000040CC: D3F3000C 1C32056A
	buffer_load_dwordx4 a[68:71], v42, s[84:87], 0 offen offset:1024// 0000000040D4: E05C1400 8095442A
	v_mfma_f32_16x16x32_fp8_fp8 v[12:15], a[108:109], a[4:5], v[12:15]// 0000000040DC: D3F3000C 1C32096C
	v_mfma_f32_16x16x32_fp8_fp8 v[12:15], a[110:111], a[6:7], v[12:15]// 0000000040E4: D3F3000C 1C320D6E
	ds_read_b128 a[24:27], v2 offset:512                       // 0000000040EC: DBFE0200 18000002
	ds_read_b128 a[28:31], v2 offset:576                       // 0000000040F4: DBFE0240 1C000002
	v_fma_f32 v80, v8, v4, v80                                 // 0000000040FC: D1CB0050 05420908
	v_fma_f32 v81, v9, v4, v81                                 // 000000004104: D1CB0051 05460909
	v_fma_f32 v82, v10, v4, v82                                // 00000000410C: D1CB0052 054A090A
	v_fma_f32 v83, v11, v4, v83                                // 000000004114: D1CB0053 054E090B
	v_mul_f32_dpp v6, v29, v36 row_newbcast:1 row_mask:0xf bank_mask:0xf// 00000000411C: 0A0C48FA FF01511D
	v_mfma_f32_16x16x32_fp8_fp8 v[8:11], a[112:113], a[0:1], 0 // 000000004124: D3F30008 1A020170
	v_mfma_f32_16x16x32_fp8_fp8 v[8:11], a[114:115], a[2:3], v[8:11]// 00000000412C: D3F30008 1C220572
	buffer_load_dwordx4 a[72:75], v43, s[84:87], 0 offen       // 000000004134: E05C1000 8095482B
	v_mfma_f32_16x16x32_fp8_fp8 v[8:11], a[116:117], a[4:5], v[8:11]// 00000000413C: D3F30008 1C220974
	v_mfma_f32_16x16x32_fp8_fp8 v[8:11], a[118:119], a[6:7], v[8:11]// 000000004144: D3F30008 1C220D76
	v_fma_f32 v88, v12, v4, v88                                // 00000000414C: D1CB0058 0562090C
	v_fma_f32 v89, v13, v4, v89                                // 000000004154: D1CB0059 0566090D
	v_fma_f32 v90, v14, v4, v90                                // 00000000415C: D1CB005A 056A090E
	v_fma_f32 v91, v15, v4, v91                                // 000000004164: D1CB005B 056E090F
	v_mfma_f32_16x16x32_fp8_fp8 v[12:15], a[120:121], a[0:1], 0// 00000000416C: D3F3000C 1A020178
	v_mfma_f32_16x16x32_fp8_fp8 v[12:15], a[122:123], a[2:3], v[12:15]// 000000004174: D3F3000C 1C32057A
	buffer_load_dwordx4 a[76:79], v43, s[84:87], 0 offen offset:1024// 00000000417C: E05C1400 80954C2B
	v_mfma_f32_16x16x32_fp8_fp8 v[12:15], a[124:125], a[4:5], v[12:15]// 000000004184: D3F3000C 1C32097C
	v_mfma_f32_16x16x32_fp8_fp8 v[12:15], a[126:127], a[6:7], v[12:15]// 00000000418C: D3F3000C 1C320D7E
	v_fma_f32 v96, v8, v6, v96                                 // 000000004194: D1CB0060 05820D08
	v_fma_f32 v97, v9, v6, v97                                 // 00000000419C: D1CB0061 05860D09
	v_fma_f32 v98, v10, v6, v98                                // 0000000041A4: D1CB0062 058A0D0A
	v_fma_f32 v99, v11, v6, v99                                // 0000000041AC: D1CB0063 058E0D0B
	v_mul_f32_dpp v4, v29, v37 row_newbcast:0 row_mask:0xf bank_mask:0xf// 0000000041B4: 0A084AFA FF01501D
	v_mfma_f32_16x16x32_fp8_fp8 v[8:11], a[96:97], a[8:9], 0   // 0000000041BC: D3F30008 1A021160
	v_mfma_f32_16x16x32_fp8_fp8 v[8:11], a[98:99], a[10:11], v[8:11]// 0000000041C4: D3F30008 1C221562
	buffer_load_dwordx4 a[80:83], v44, s[84:87], 0 offen       // 0000000041CC: E05C1000 8095502C
	v_mfma_f32_16x16x32_fp8_fp8 v[8:11], a[100:101], a[12:13], v[8:11]// 0000000041D4: D3F30008 1C221964
	v_mfma_f32_16x16x32_fp8_fp8 v[8:11], a[102:103], a[14:15], v[8:11]// 0000000041DC: D3F30008 1C221D66
	v_fma_f32 v104, v12, v6, v104                              // 0000000041E4: D1CB0068 05A20D0C
	v_fma_f32 v105, v13, v6, v105                              // 0000000041EC: D1CB0069 05A60D0D
	v_fma_f32 v106, v14, v6, v106                              // 0000000041F4: D1CB006A 05AA0D0E
	v_fma_f32 v107, v15, v6, v107                              // 0000000041FC: D1CB006B 05AE0D0F
	v_mfma_f32_16x16x32_fp8_fp8 v[12:15], a[104:105], a[8:9], 0// 000000004204: D3F3000C 1A021168
	v_mfma_f32_16x16x32_fp8_fp8 v[12:15], a[106:107], a[10:11], v[12:15]// 00000000420C: D3F3000C 1C32156A
	buffer_load_dwordx4 a[84:87], v44, s[84:87], 0 offen offset:1024// 000000004214: E05C1400 8095542C
	v_mfma_f32_16x16x32_fp8_fp8 v[12:15], a[108:109], a[12:13], v[12:15]// 00000000421C: D3F3000C 1C32196C
	v_mfma_f32_16x16x32_fp8_fp8 v[12:15], a[110:111], a[14:15], v[12:15]// 000000004224: D3F3000C 1C321D6E
	v_fma_f32 v84, v8, v4, v84                                 // 00000000422C: D1CB0054 05520908
	v_fma_f32 v85, v9, v4, v85                                 // 000000004234: D1CB0055 05560909
	v_fma_f32 v86, v10, v4, v86                                // 00000000423C: D1CB0056 055A090A
	v_fma_f32 v87, v11, v4, v87                                // 000000004244: D1CB0057 055E090B
	v_mul_f32_dpp v6, v29, v37 row_newbcast:1 row_mask:0xf bank_mask:0xf// 00000000424C: 0A0C4AFA FF01511D
	v_mfma_f32_16x16x32_fp8_fp8 v[8:11], a[112:113], a[8:9], 0 // 000000004254: D3F30008 1A021170
	s_add_u32 s60, 0x180, s80                                  // 00000000425C: 803C50FF 00000180
	s_cmp_lt_u32 s60, s81                                      // 000000004264: BF0A513C
	s_cselect_b32 s57, s57, 0                                  // 000000004268: 85398039
	s_cselect_b32 s3, s3, 0                                    // 00000000426C: 85038003
	v_mfma_f32_16x16x32_fp8_fp8 v[8:11], a[114:115], a[10:11], v[8:11]// 000000004270: D3F30008 1C221572
	buffer_load_dwordx4 a[88:91], v45, s[84:87], 0 offen       // 000000004278: E05C1000 8095582D
	s_add_u32 s60, 0x100, s80                                  // 000000004280: 803C50FF 00000100
	s_cmp_lt_u32 s60, s81                                      // 000000004288: BF0A513C
	s_cselect_b32 s58, s58, 0                                  // 00000000428C: 853A803A
	v_mfma_f32_16x16x32_fp8_fp8 v[8:11], a[116:117], a[12:13], v[8:11]// 000000004290: D3F30008 1C221974
	s_add_u32 s60, 0x100, s80                                  // 000000004298: 803C50FF 00000100
	s_cmp_lt_u32 s60, s81                                      // 0000000042A0: BF0A513C
	s_cselect_b32 s83, s83, 0                                  // 0000000042A4: 85538053
	s_cselect_b32 s4, s4, 0                                    // 0000000042A8: 85048004
	v_mfma_f32_16x16x32_fp8_fp8 v[8:11], a[118:119], a[14:15], v[8:11]// 0000000042AC: D3F30008 1C221D76
	s_add_u32 s24, s58, s24                                    // 0000000042B4: 8018183A
	s_addc_u32 s25, 0, s25                                     // 0000000042B8: 82191980
	v_fma_f32 v92, v12, v4, v92                                // 0000000042BC: D1CB005C 0572090C
	v_fma_f32 v93, v13, v4, v93                                // 0000000042C4: D1CB005D 0576090D
	v_fma_f32 v94, v14, v4, v94                                // 0000000042CC: D1CB005E 057A090E
	v_fma_f32 v95, v15, v4, v95                                // 0000000042D4: D1CB005F 057E090F
	v_mfma_f32_16x16x32_fp8_fp8 v[12:15], a[120:121], a[8:9], 0// 0000000042DC: D3F3000C 1A021178
	s_add_u32 s20, s57, s20                                    // 0000000042E4: 80141439
	s_addc_u32 s21, 0, s21                                     // 0000000042E8: 82151580
	s_add_u32 s28, s3, s28                                     // 0000000042EC: 801C1C03
	s_addc_u32 s29, 0, s29                                     // 0000000042F0: 821D1D80
	v_mfma_f32_16x16x32_fp8_fp8 v[12:15], a[122:123], a[10:11], v[12:15]// 0000000042F4: D3F3000C 1C32157A
	buffer_load_dwordx4 a[92:95], v45, s[84:87], 0 offen offset:1024// 0000000042FC: E05C1400 80955C2D
	s_add_u32 s84, s83, s84                                    // 000000004304: 80545453
	s_addc_u32 s85, 0, s85                                     // 000000004308: 82555580
	v_mfma_f32_16x16x32_fp8_fp8 v[12:15], a[124:125], a[12:13], v[12:15]// 00000000430C: D3F3000C 1C32197C
	s_add_u32 s32, s4, s32                                     // 000000004314: 80202004
	s_addc_u32 s33, 0, s33                                     // 000000004318: 82212180
	v_mfma_f32_16x16x32_fp8_fp8 v[12:15], a[126:127], a[14:15], v[12:15]// 00000000431C: D3F3000C 1C321D7E
	v_fma_f32 v100, v8, v6, v100                               // 000000004324: D1CB0064 05920D08
	v_fma_f32 v101, v9, v6, v101                               // 00000000432C: D1CB0065 05960D09
	v_fma_f32 v102, v10, v6, v102                              // 000000004334: D1CB0066 059A0D0A
	v_fma_f32 v103, v11, v6, v103                              // 00000000433C: D1CB0067 059E0D0B
	v_fma_f32 v108, v12, v6, v108                              // 000000004344: D1CB006C 05B20D0C
	v_fma_f32 v109, v13, v6, v109                              // 00000000434C: D1CB006D 05B60D0D
	v_fma_f32 v110, v14, v6, v110                              // 000000004354: D1CB006E 05BA0D0E
	v_fma_f32 v111, v15, v6, v111                              // 00000000435C: D1CB006F 05BE0D0F
	s_addk_i32 s80, 0x80                                       // 000000004364: B7500080
	s_cmp_lt_i32 s80, s81                                      // 000000004368: BF045150
	s_cbranch_scc0 label_0AA4                                  // 00000000436C: BF840448
	s_waitcnt vmcnt(15) lgkmcnt(0)                             // 000000004370: BF8C007F
	v_mul_f32_dpp v4, v24, v32 row_newbcast:0 row_mask:0xf bank_mask:0xf// 000000004374: 0A0840FA FF015018
	v_mfma_f32_16x16x32_fp8_fp8 v[8:11], a[32:33], a[16:17], 0 // 00000000437C: D3F30008 1A022120
	buffer_load_dword v25, v22, s[32:35], 0 offen              // 000000004384: E0501000 80081916
	v_mfma_f32_16x16x32_fp8_fp8 v[8:11], a[34:35], a[18:19], v[8:11]// 00000000438C: D3F30008 1C222522
	buffer_load_dwordx4 a[96:99], v42, s[24:27], 0 offen       // 000000004394: E05C1000 8086602A
	v_mfma_f32_16x16x32_fp8_fp8 v[8:11], a[36:37], a[20:21], v[8:11]// 00000000439C: D3F30008 1C222924
	v_mfma_f32_16x16x32_fp8_fp8 v[8:11], a[38:39], a[22:23], v[8:11]// 0000000043A4: D3F30008 1C222D26
	v_mfma_f32_16x16x32_fp8_fp8 v[12:15], a[40:41], a[16:17], 0// 0000000043AC: D3F3000C 1A022128
	v_mfma_f32_16x16x32_fp8_fp8 v[12:15], a[42:43], a[18:19], v[12:15]// 0000000043B4: D3F3000C 1C32252A
	buffer_load_dwordx4 a[100:103], v42, s[24:27], 0 offen offset:1024// 0000000043BC: E05C1400 8086642A
	v_mfma_f32_16x16x32_fp8_fp8 v[12:15], a[44:45], a[20:21], v[12:15]// 0000000043C4: D3F3000C 1C32292C
	v_mfma_f32_16x16x32_fp8_fp8 v[12:15], a[46:47], a[22:23], v[12:15]// 0000000043CC: D3F3000C 1C322D2E
	v_fma_f32 v48, v8, v4, v48                                 // 0000000043D4: D1CB0030 04C20908
	v_fma_f32 v49, v9, v4, v49                                 // 0000000043DC: D1CB0031 04C60909
	v_fma_f32 v50, v10, v4, v50                                // 0000000043E4: D1CB0032 04CA090A
	v_fma_f32 v51, v11, v4, v51                                // 0000000043EC: D1CB0033 04CE090B
	v_mul_f32_dpp v6, v24, v32 row_newbcast:1 row_mask:0xf bank_mask:0xf// 0000000043F4: 0A0C40FA FF015118
	v_mfma_f32_16x16x32_fp8_fp8 v[8:11], a[48:49], a[16:17], 0 // 0000000043FC: D3F30008 1A022130
	v_mfma_f32_16x16x32_fp8_fp8 v[8:11], a[50:51], a[18:19], v[8:11]// 000000004404: D3F30008 1C222532
	buffer_load_dwordx4 a[104:107], v43, s[24:27], 0 offen     // 00000000440C: E05C1000 8086682B
	v_mfma_f32_16x16x32_fp8_fp8 v[8:11], a[52:53], a[20:21], v[8:11]// 000000004414: D3F30008 1C222934
	v_mfma_f32_16x16x32_fp8_fp8 v[8:11], a[54:55], a[22:23], v[8:11]// 00000000441C: D3F30008 1C222D36
	v_fma_f32 v56, v12, v4, v56                                // 000000004424: D1CB0038 04E2090C
	v_fma_f32 v57, v13, v4, v57                                // 00000000442C: D1CB0039 04E6090D
	v_fma_f32 v58, v14, v4, v58                                // 000000004434: D1CB003A 04EA090E
	v_fma_f32 v59, v15, v4, v59                                // 00000000443C: D1CB003B 04EE090F
	v_mfma_f32_16x16x32_fp8_fp8 v[12:15], a[56:57], a[16:17], 0// 000000004444: D3F3000C 1A022138
	v_mfma_f32_16x16x32_fp8_fp8 v[12:15], a[58:59], a[18:19], v[12:15]// 00000000444C: D3F3000C 1C32253A
	buffer_load_dwordx4 a[108:111], v43, s[24:27], 0 offen offset:1024// 000000004454: E05C1400 80866C2B
	v_mfma_f32_16x16x32_fp8_fp8 v[12:15], a[60:61], a[20:21], v[12:15]// 00000000445C: D3F3000C 1C32293C
	v_mfma_f32_16x16x32_fp8_fp8 v[12:15], a[62:63], a[22:23], v[12:15]// 000000004464: D3F3000C 1C322D3E
	v_fma_f32 v64, v8, v6, v64                                 // 00000000446C: D1CB0040 05020D08
	v_fma_f32 v65, v9, v6, v65                                 // 000000004474: D1CB0041 05060D09
	v_fma_f32 v66, v10, v6, v66                                // 00000000447C: D1CB0042 050A0D0A
	v_fma_f32 v67, v11, v6, v67                                // 000000004484: D1CB0043 050E0D0B
	v_mul_f32_dpp v4, v24, v33 row_newbcast:0 row_mask:0xf bank_mask:0xf// 00000000448C: 0A0842FA FF015018
	v_mfma_f32_16x16x32_fp8_fp8 v[8:11], a[32:33], a[24:25], 0 // 000000004494: D3F30008 1A023120
	v_mfma_f32_16x16x32_fp8_fp8 v[8:11], a[34:35], a[26:27], v[8:11]// 00000000449C: D3F30008 1C223522
	buffer_load_dwordx4 a[112:115], v44, s[24:27], 0 offen     // 0000000044A4: E05C1000 8086702C
	v_mfma_f32_16x16x32_fp8_fp8 v[8:11], a[36:37], a[28:29], v[8:11]// 0000000044AC: D3F30008 1C223924
	v_mfma_f32_16x16x32_fp8_fp8 v[8:11], a[38:39], a[30:31], v[8:11]// 0000000044B4: D3F30008 1C223D26
	v_fma_f32 v72, v12, v6, v72                                // 0000000044BC: D1CB0048 05220D0C
	v_fma_f32 v73, v13, v6, v73                                // 0000000044C4: D1CB0049 05260D0D
	v_fma_f32 v74, v14, v6, v74                                // 0000000044CC: D1CB004A 052A0D0E
	v_fma_f32 v75, v15, v6, v75                                // 0000000044D4: D1CB004B 052E0D0F
	v_mfma_f32_16x16x32_fp8_fp8 v[12:15], a[40:41], a[24:25], 0// 0000000044DC: D3F3000C 1A023128
	v_mfma_f32_16x16x32_fp8_fp8 v[12:15], a[42:43], a[26:27], v[12:15]// 0000000044E4: D3F3000C 1C32352A
	buffer_load_dwordx4 a[116:119], v44, s[24:27], 0 offen offset:1024// 0000000044EC: E05C1400 8086742C
	v_mfma_f32_16x16x32_fp8_fp8 v[12:15], a[44:45], a[28:29], v[12:15]// 0000000044F4: D3F3000C 1C32392C
	v_mfma_f32_16x16x32_fp8_fp8 v[12:15], a[46:47], a[30:31], v[12:15]// 0000000044FC: D3F3000C 1C323D2E
	v_fma_f32 v52, v8, v4, v52                                 // 000000004504: D1CB0034 04D20908
	v_fma_f32 v53, v9, v4, v53                                 // 00000000450C: D1CB0035 04D60909
	v_fma_f32 v54, v10, v4, v54                                // 000000004514: D1CB0036 04DA090A
	v_fma_f32 v55, v11, v4, v55                                // 00000000451C: D1CB0037 04DE090B
	v_mul_f32_dpp v6, v24, v33 row_newbcast:1 row_mask:0xf bank_mask:0xf// 000000004524: 0A0C42FA FF015118
	v_mfma_f32_16x16x32_fp8_fp8 v[8:11], a[48:49], a[24:25], 0 // 00000000452C: D3F30008 1A023130
	v_mfma_f32_16x16x32_fp8_fp8 v[8:11], a[50:51], a[26:27], v[8:11]// 000000004534: D3F30008 1C223532
	buffer_load_dwordx4 a[120:123], v45, s[24:27], 0 offen     // 00000000453C: E05C1000 8086782D
	v_mfma_f32_16x16x32_fp8_fp8 v[8:11], a[52:53], a[28:29], v[8:11]// 000000004544: D3F30008 1C223934
	v_mfma_f32_16x16x32_fp8_fp8 v[8:11], a[54:55], a[30:31], v[8:11]// 00000000454C: D3F30008 1C223D36
	v_fma_f32 v60, v12, v4, v60                                // 000000004554: D1CB003C 04F2090C
	v_fma_f32 v61, v13, v4, v61                                // 00000000455C: D1CB003D 04F6090D
	v_fma_f32 v62, v14, v4, v62                                // 000000004564: D1CB003E 04FA090E
	v_fma_f32 v63, v15, v4, v63                                // 00000000456C: D1CB003F 04FE090F
	v_mfma_f32_16x16x32_fp8_fp8 v[12:15], a[56:57], a[24:25], 0// 000000004574: D3F3000C 1A023138
	v_mfma_f32_16x16x32_fp8_fp8 v[12:15], a[58:59], a[26:27], v[12:15]// 00000000457C: D3F3000C 1C32353A
	buffer_load_dwordx4 a[124:127], v45, s[24:27], 0 offen offset:1024// 000000004584: E05C1400 80867C2D
	buffer_load_dword v38, s[20:23], 0 offen lds               // 00000000458C: E0511000 80050026
	s_add_u32 m0, 0x100, s50                                   // 000000004594: 807C32FF 00000100
	v_mfma_f32_16x16x32_fp8_fp8 v[12:15], a[60:61], a[28:29], v[12:15]// 00000000459C: D3F3000C 1C32393C
	v_mfma_f32_16x16x32_fp8_fp8 v[12:15], a[62:63], a[30:31], v[12:15]// 0000000045A4: D3F3000C 1C323D3E
	buffer_load_dword v39, s[20:23], 0 offen lds               // 0000000045AC: E0511000 80050027
	s_add_u32 m0, 0x200, s50                                   // 0000000045B4: 807C32FF 00000200
	v_fma_f32 v68, v8, v6, v68                                 // 0000000045BC: D1CB0044 05120D08
	v_fma_f32 v69, v9, v6, v69                                 // 0000000045C4: D1CB0045 05160D09
	v_fma_f32 v70, v10, v6, v70                                // 0000000045CC: D1CB0046 051A0D0A
	v_fma_f32 v71, v11, v6, v71                                // 0000000045D4: D1CB0047 051E0D0B
	v_fma_f32 v76, v12, v6, v76                                // 0000000045DC: D1CB004C 05320D0C
	v_fma_f32 v77, v13, v6, v77                                // 0000000045E4: D1CB004D 05360D0D
	v_fma_f32 v78, v14, v6, v78                                // 0000000045EC: D1CB004E 053A0D0E
	v_fma_f32 v79, v15, v6, v79                                // 0000000045F4: D1CB004F 053E0D0F
	buffer_load_dword v40, s[20:23], 0 offen lds               // 0000000045FC: E0511000 80050028
	s_add_u32 m0, 0x300, s50                                   // 000000004604: 807C32FF 00000300
	buffer_load_dword v41, s[20:23], 0 offen lds               // 00000000460C: E0511000 80050029
	s_add_u32 m0, 0, s48                                       // 000000004614: 807C3080
	buffer_load_dword v36, v30, s[28:31], 0 offen              // 000000004618: E0501000 8007241E
	buffer_load_dword v37, v31, s[28:31], 0 offen              // 000000004620: E0501000 8007251F
	s_waitcnt vmcnt(15)                                        // 000000004628: BF8C0F7F
	s_barrier                                                  // 00000000462C: BF8A0000
	v_mul_f32_dpp v4, v27, v32 row_newbcast:0 row_mask:0xf bank_mask:0xf// 000000004630: 0A0840FA FF01501B
	v_mfma_f32_16x16x32_fp8_fp8 v[8:11], a[64:65], a[16:17], 0 // 000000004638: D3F30008 1A022140
	buffer_load_dword v28, v23, s[32:35], 0 offen              // 000000004640: E0501000 80081C17
	v_mfma_f32_16x16x32_fp8_fp8 v[8:11], a[66:67], a[18:19], v[8:11]// 000000004648: D3F30008 1C222542
	buffer_load_dwordx4 a[32:35], v42, s[84:87], 0 offen       // 000000004650: E05C1000 8095202A
	v_mfma_f32_16x16x32_fp8_fp8 v[8:11], a[68:69], a[20:21], v[8:11]// 000000004658: D3F30008 1C222944
	v_mfma_f32_16x16x32_fp8_fp8 v[8:11], a[70:71], a[22:23], v[8:11]// 000000004660: D3F30008 1C222D46
	ds_read_b128 a[0:3], v2 offset:4224                        // 000000004668: DBFE1080 00000002
	ds_read_b128 a[4:7], v2 offset:4288                        // 000000004670: DBFE10C0 04000002
	v_mfma_f32_16x16x32_fp8_fp8 v[12:15], a[72:73], a[16:17], 0// 000000004678: D3F3000C 1A022148
	v_mfma_f32_16x16x32_fp8_fp8 v[12:15], a[74:75], a[18:19], v[12:15]// 000000004680: D3F3000C 1C32254A
	buffer_load_dwordx4 a[36:39], v42, s[84:87], 0 offen offset:1024// 000000004688: E05C1400 8095242A
	v_mfma_f32_16x16x32_fp8_fp8 v[12:15], a[76:77], a[20:21], v[12:15]// 000000004690: D3F3000C 1C32294C
	v_mfma_f32_16x16x32_fp8_fp8 v[12:15], a[78:79], a[22:23], v[12:15]// 000000004698: D3F3000C 1C322D4E
	ds_read_b128 a[8:11], v2 offset:4736                       // 0000000046A0: DBFE1280 08000002
	ds_read_b128 a[12:15], v2 offset:4800                      // 0000000046A8: DBFE12C0 0C000002
	v_fma_f32 v80, v8, v4, v80                                 // 0000000046B0: D1CB0050 05420908
	v_fma_f32 v81, v9, v4, v81                                 // 0000000046B8: D1CB0051 05460909
	v_fma_f32 v82, v10, v4, v82                                // 0000000046C0: D1CB0052 054A090A
	v_fma_f32 v83, v11, v4, v83                                // 0000000046C8: D1CB0053 054E090B
	v_mul_f32_dpp v6, v27, v32 row_newbcast:1 row_mask:0xf bank_mask:0xf// 0000000046D0: 0A0C40FA FF01511B
	v_mfma_f32_16x16x32_fp8_fp8 v[8:11], a[80:81], a[16:17], 0 // 0000000046D8: D3F30008 1A022150
	v_mfma_f32_16x16x32_fp8_fp8 v[8:11], a[82:83], a[18:19], v[8:11]// 0000000046E0: D3F30008 1C222552
	buffer_load_dwordx4 a[40:43], v43, s[84:87], 0 offen       // 0000000046E8: E05C1000 8095282B
	v_mfma_f32_16x16x32_fp8_fp8 v[8:11], a[84:85], a[20:21], v[8:11]// 0000000046F0: D3F30008 1C222954
	v_mfma_f32_16x16x32_fp8_fp8 v[8:11], a[86:87], a[22:23], v[8:11]// 0000000046F8: D3F30008 1C222D56
	v_fma_f32 v88, v12, v4, v88                                // 000000004700: D1CB0058 0562090C
	v_fma_f32 v89, v13, v4, v89                                // 000000004708: D1CB0059 0566090D
	v_fma_f32 v90, v14, v4, v90                                // 000000004710: D1CB005A 056A090E
	v_fma_f32 v91, v15, v4, v91                                // 000000004718: D1CB005B 056E090F
	v_mfma_f32_16x16x32_fp8_fp8 v[12:15], a[88:89], a[16:17], 0// 000000004720: D3F3000C 1A022158
	v_mfma_f32_16x16x32_fp8_fp8 v[12:15], a[90:91], a[18:19], v[12:15]// 000000004728: D3F3000C 1C32255A
	buffer_load_dwordx4 a[44:47], v43, s[84:87], 0 offen offset:1024// 000000004730: E05C1400 80952C2B
	v_mfma_f32_16x16x32_fp8_fp8 v[12:15], a[92:93], a[20:21], v[12:15]// 000000004738: D3F3000C 1C32295C
	v_mfma_f32_16x16x32_fp8_fp8 v[12:15], a[94:95], a[22:23], v[12:15]// 000000004740: D3F3000C 1C322D5E
	v_fma_f32 v96, v8, v6, v96                                 // 000000004748: D1CB0060 05820D08
	v_fma_f32 v97, v9, v6, v97                                 // 000000004750: D1CB0061 05860D09
	v_fma_f32 v98, v10, v6, v98                                // 000000004758: D1CB0062 058A0D0A
	v_fma_f32 v99, v11, v6, v99                                // 000000004760: D1CB0063 058E0D0B
	v_mul_f32_dpp v4, v27, v33 row_newbcast:0 row_mask:0xf bank_mask:0xf// 000000004768: 0A0842FA FF01501B
	v_mfma_f32_16x16x32_fp8_fp8 v[8:11], a[64:65], a[24:25], 0 // 000000004770: D3F30008 1A023140
	v_mfma_f32_16x16x32_fp8_fp8 v[8:11], a[66:67], a[26:27], v[8:11]// 000000004778: D3F30008 1C223542
	buffer_load_dwordx4 a[48:51], v44, s[84:87], 0 offen       // 000000004780: E05C1000 8095302C
	v_mfma_f32_16x16x32_fp8_fp8 v[8:11], a[68:69], a[28:29], v[8:11]// 000000004788: D3F30008 1C223944
	v_mfma_f32_16x16x32_fp8_fp8 v[8:11], a[70:71], a[30:31], v[8:11]// 000000004790: D3F30008 1C223D46
	v_fma_f32 v104, v12, v6, v104                              // 000000004798: D1CB0068 05A20D0C
	v_fma_f32 v105, v13, v6, v105                              // 0000000047A0: D1CB0069 05A60D0D
	v_fma_f32 v106, v14, v6, v106                              // 0000000047A8: D1CB006A 05AA0D0E
	v_fma_f32 v107, v15, v6, v107                              // 0000000047B0: D1CB006B 05AE0D0F
	v_mfma_f32_16x16x32_fp8_fp8 v[12:15], a[72:73], a[24:25], 0// 0000000047B8: D3F3000C 1A023148
	v_mfma_f32_16x16x32_fp8_fp8 v[12:15], a[74:75], a[26:27], v[12:15]// 0000000047C0: D3F3000C 1C32354A
	buffer_load_dwordx4 a[52:55], v44, s[84:87], 0 offen offset:1024// 0000000047C8: E05C1400 8095342C
	v_mfma_f32_16x16x32_fp8_fp8 v[12:15], a[76:77], a[28:29], v[12:15]// 0000000047D0: D3F3000C 1C32394C
	v_mfma_f32_16x16x32_fp8_fp8 v[12:15], a[78:79], a[30:31], v[12:15]// 0000000047D8: D3F3000C 1C323D4E
	v_fma_f32 v84, v8, v4, v84                                 // 0000000047E0: D1CB0054 05520908
	v_fma_f32 v85, v9, v4, v85                                 // 0000000047E8: D1CB0055 05560909
	v_fma_f32 v86, v10, v4, v86                                // 0000000047F0: D1CB0056 055A090A
	v_fma_f32 v87, v11, v4, v87                                // 0000000047F8: D1CB0057 055E090B
	v_mul_f32_dpp v6, v27, v33 row_newbcast:1 row_mask:0xf bank_mask:0xf// 000000004800: 0A0C42FA FF01511B
	v_mfma_f32_16x16x32_fp8_fp8 v[8:11], a[80:81], a[24:25], 0 // 000000004808: D3F30008 1A023150
	s_add_u32 s60, 0x180, s80                                  // 000000004810: 803C50FF 00000180
	s_cmp_lt_u32 s60, s81                                      // 000000004818: BF0A513C
	s_cselect_b32 s57, s57, 0                                  // 00000000481C: 85398039
	s_cselect_b32 s3, s3, 0                                    // 000000004820: 85038003
	v_mfma_f32_16x16x32_fp8_fp8 v[8:11], a[82:83], a[26:27], v[8:11]// 000000004824: D3F30008 1C223552
	buffer_load_dwordx4 a[56:59], v45, s[84:87], 0 offen       // 00000000482C: E05C1000 8095382D
	s_add_u32 s60, 0x100, s80                                  // 000000004834: 803C50FF 00000100
	s_cmp_lt_u32 s60, s81                                      // 00000000483C: BF0A513C
	s_cselect_b32 s58, s58, 0                                  // 000000004840: 853A803A
	v_mfma_f32_16x16x32_fp8_fp8 v[8:11], a[84:85], a[28:29], v[8:11]// 000000004844: D3F30008 1C223954
	s_add_u32 s60, 0x100, s80                                  // 00000000484C: 803C50FF 00000100
	s_cmp_lt_u32 s60, s81                                      // 000000004854: BF0A513C
	s_cselect_b32 s83, s83, 0                                  // 000000004858: 85538053
	s_cselect_b32 s4, s4, 0                                    // 00000000485C: 85048004
	v_mfma_f32_16x16x32_fp8_fp8 v[8:11], a[86:87], a[30:31], v[8:11]// 000000004860: D3F30008 1C223D56
	s_add_u32 s24, s58, s24                                    // 000000004868: 8018183A
	s_addc_u32 s25, 0, s25                                     // 00000000486C: 82191980
	v_fma_f32 v92, v12, v4, v92                                // 000000004870: D1CB005C 0572090C
	v_fma_f32 v93, v13, v4, v93                                // 000000004878: D1CB005D 0576090D
	v_fma_f32 v94, v14, v4, v94                                // 000000004880: D1CB005E 057A090E
	v_fma_f32 v95, v15, v4, v95                                // 000000004888: D1CB005F 057E090F
	v_mfma_f32_16x16x32_fp8_fp8 v[12:15], a[88:89], a[24:25], 0// 000000004890: D3F3000C 1A023158
	s_add_u32 s20, s57, s20                                    // 000000004898: 80141439
	s_addc_u32 s21, 0, s21                                     // 00000000489C: 82151580
	s_add_u32 s28, s3, s28                                     // 0000000048A0: 801C1C03
	s_addc_u32 s29, 0, s29                                     // 0000000048A4: 821D1D80
	v_mfma_f32_16x16x32_fp8_fp8 v[12:15], a[90:91], a[26:27], v[12:15]// 0000000048A8: D3F3000C 1C32355A
	buffer_load_dwordx4 a[60:63], v45, s[84:87], 0 offen offset:1024// 0000000048B0: E05C1400 80953C2D
	s_add_u32 s84, s83, s84                                    // 0000000048B8: 80545453
	s_addc_u32 s85, 0, s85                                     // 0000000048BC: 82555580
	v_mfma_f32_16x16x32_fp8_fp8 v[12:15], a[92:93], a[28:29], v[12:15]// 0000000048C0: D3F3000C 1C32395C
	s_add_u32 s32, s4, s32                                     // 0000000048C8: 80202004
	s_addc_u32 s33, 0, s33                                     // 0000000048CC: 82212180
	v_mfma_f32_16x16x32_fp8_fp8 v[12:15], a[94:95], a[30:31], v[12:15]// 0000000048D0: D3F3000C 1C323D5E
	v_fma_f32 v100, v8, v6, v100                               // 0000000048D8: D1CB0064 05920D08
	v_fma_f32 v101, v9, v6, v101                               // 0000000048E0: D1CB0065 05960D09
	v_fma_f32 v102, v10, v6, v102                              // 0000000048E8: D1CB0066 059A0D0A
	v_fma_f32 v103, v11, v6, v103                              // 0000000048F0: D1CB0067 059E0D0B
	v_fma_f32 v108, v12, v6, v108                              // 0000000048F8: D1CB006C 05B20D0C
	v_fma_f32 v109, v13, v6, v109                              // 000000004900: D1CB006D 05B60D0D
	v_fma_f32 v110, v14, v6, v110                              // 000000004908: D1CB006E 05BA0D0E
	v_fma_f32 v111, v15, v6, v111                              // 000000004910: D1CB006F 05BE0D0F
	s_addk_i32 s80, 0x80                                       // 000000004918: B7500080
	s_cmp_lt_i32 s80, s81                                      // 00000000491C: BF045150
	s_cbranch_scc0 label_0AA4                                  // 000000004920: BF8402DB
	s_waitcnt vmcnt(15) lgkmcnt(0)                             // 000000004924: BF8C007F
	v_mul_f32_dpp v4, v25, v34 row_newbcast:0 row_mask:0xf bank_mask:0xf// 000000004928: 0A0844FA FF015019
	v_mfma_f32_16x16x32_fp8_fp8 v[8:11], a[96:97], a[0:1], 0   // 000000004930: D3F30008 1A020160
	buffer_load_dword v26, v22, s[32:35], 0 offen              // 000000004938: E0501000 80081A16
	v_mfma_f32_16x16x32_fp8_fp8 v[8:11], a[98:99], a[2:3], v[8:11]// 000000004940: D3F30008 1C220562
	buffer_load_dwordx4 a[64:67], v42, s[24:27], 0 offen       // 000000004948: E05C1000 8086402A
	v_mfma_f32_16x16x32_fp8_fp8 v[8:11], a[100:101], a[4:5], v[8:11]// 000000004950: D3F30008 1C220964
	v_mfma_f32_16x16x32_fp8_fp8 v[8:11], a[102:103], a[6:7], v[8:11]// 000000004958: D3F30008 1C220D66
	v_mfma_f32_16x16x32_fp8_fp8 v[12:15], a[104:105], a[0:1], 0// 000000004960: D3F3000C 1A020168
	v_mfma_f32_16x16x32_fp8_fp8 v[12:15], a[106:107], a[2:3], v[12:15]// 000000004968: D3F3000C 1C32056A
	buffer_load_dwordx4 a[68:71], v42, s[24:27], 0 offen offset:1024// 000000004970: E05C1400 8086442A
	v_mfma_f32_16x16x32_fp8_fp8 v[12:15], a[108:109], a[4:5], v[12:15]// 000000004978: D3F3000C 1C32096C
	v_mfma_f32_16x16x32_fp8_fp8 v[12:15], a[110:111], a[6:7], v[12:15]// 000000004980: D3F3000C 1C320D6E
	v_fma_f32 v48, v8, v4, v48                                 // 000000004988: D1CB0030 04C20908
	v_fma_f32 v49, v9, v4, v49                                 // 000000004990: D1CB0031 04C60909
	v_fma_f32 v50, v10, v4, v50                                // 000000004998: D1CB0032 04CA090A
	v_fma_f32 v51, v11, v4, v51                                // 0000000049A0: D1CB0033 04CE090B
	v_mul_f32_dpp v6, v25, v34 row_newbcast:1 row_mask:0xf bank_mask:0xf// 0000000049A8: 0A0C44FA FF015119
	v_mfma_f32_16x16x32_fp8_fp8 v[8:11], a[112:113], a[0:1], 0 // 0000000049B0: D3F30008 1A020170
	v_mfma_f32_16x16x32_fp8_fp8 v[8:11], a[114:115], a[2:3], v[8:11]// 0000000049B8: D3F30008 1C220572
	buffer_load_dwordx4 a[72:75], v43, s[24:27], 0 offen       // 0000000049C0: E05C1000 8086482B
	v_mfma_f32_16x16x32_fp8_fp8 v[8:11], a[116:117], a[4:5], v[8:11]// 0000000049C8: D3F30008 1C220974
	v_mfma_f32_16x16x32_fp8_fp8 v[8:11], a[118:119], a[6:7], v[8:11]// 0000000049D0: D3F30008 1C220D76
	v_fma_f32 v56, v12, v4, v56                                // 0000000049D8: D1CB0038 04E2090C
	v_fma_f32 v57, v13, v4, v57                                // 0000000049E0: D1CB0039 04E6090D
	v_fma_f32 v58, v14, v4, v58                                // 0000000049E8: D1CB003A 04EA090E
	v_fma_f32 v59, v15, v4, v59                                // 0000000049F0: D1CB003B 04EE090F
	v_mfma_f32_16x16x32_fp8_fp8 v[12:15], a[120:121], a[0:1], 0// 0000000049F8: D3F3000C 1A020178
	v_mfma_f32_16x16x32_fp8_fp8 v[12:15], a[122:123], a[2:3], v[12:15]// 000000004A00: D3F3000C 1C32057A
	buffer_load_dwordx4 a[76:79], v43, s[24:27], 0 offen offset:1024// 000000004A08: E05C1400 80864C2B
	v_mfma_f32_16x16x32_fp8_fp8 v[12:15], a[124:125], a[4:5], v[12:15]// 000000004A10: D3F3000C 1C32097C
	v_mfma_f32_16x16x32_fp8_fp8 v[12:15], a[126:127], a[6:7], v[12:15]// 000000004A18: D3F3000C 1C320D7E
	v_fma_f32 v64, v8, v6, v64                                 // 000000004A20: D1CB0040 05020D08
	v_fma_f32 v65, v9, v6, v65                                 // 000000004A28: D1CB0041 05060D09
	v_fma_f32 v66, v10, v6, v66                                // 000000004A30: D1CB0042 050A0D0A
	v_fma_f32 v67, v11, v6, v67                                // 000000004A38: D1CB0043 050E0D0B
	v_mul_f32_dpp v4, v25, v35 row_newbcast:0 row_mask:0xf bank_mask:0xf// 000000004A40: 0A0846FA FF015019
	v_mfma_f32_16x16x32_fp8_fp8 v[8:11], a[96:97], a[8:9], 0   // 000000004A48: D3F30008 1A021160
	v_mfma_f32_16x16x32_fp8_fp8 v[8:11], a[98:99], a[10:11], v[8:11]// 000000004A50: D3F30008 1C221562
	buffer_load_dwordx4 a[80:83], v44, s[24:27], 0 offen       // 000000004A58: E05C1000 8086502C
	v_mfma_f32_16x16x32_fp8_fp8 v[8:11], a[100:101], a[12:13], v[8:11]// 000000004A60: D3F30008 1C221964
	v_mfma_f32_16x16x32_fp8_fp8 v[8:11], a[102:103], a[14:15], v[8:11]// 000000004A68: D3F30008 1C221D66
	v_fma_f32 v72, v12, v6, v72                                // 000000004A70: D1CB0048 05220D0C
	v_fma_f32 v73, v13, v6, v73                                // 000000004A78: D1CB0049 05260D0D
	v_fma_f32 v74, v14, v6, v74                                // 000000004A80: D1CB004A 052A0D0E
	v_fma_f32 v75, v15, v6, v75                                // 000000004A88: D1CB004B 052E0D0F
	v_mfma_f32_16x16x32_fp8_fp8 v[12:15], a[104:105], a[8:9], 0// 000000004A90: D3F3000C 1A021168
	v_mfma_f32_16x16x32_fp8_fp8 v[12:15], a[106:107], a[10:11], v[12:15]// 000000004A98: D3F3000C 1C32156A
	buffer_load_dwordx4 a[84:87], v44, s[24:27], 0 offen offset:1024// 000000004AA0: E05C1400 8086542C
	v_mfma_f32_16x16x32_fp8_fp8 v[12:15], a[108:109], a[12:13], v[12:15]// 000000004AA8: D3F3000C 1C32196C
	v_mfma_f32_16x16x32_fp8_fp8 v[12:15], a[110:111], a[14:15], v[12:15]// 000000004AB0: D3F3000C 1C321D6E
	v_fma_f32 v52, v8, v4, v52                                 // 000000004AB8: D1CB0034 04D20908
	v_fma_f32 v53, v9, v4, v53                                 // 000000004AC0: D1CB0035 04D60909
	v_fma_f32 v54, v10, v4, v54                                // 000000004AC8: D1CB0036 04DA090A
	v_fma_f32 v55, v11, v4, v55                                // 000000004AD0: D1CB0037 04DE090B
	v_mul_f32_dpp v6, v25, v35 row_newbcast:1 row_mask:0xf bank_mask:0xf// 000000004AD8: 0A0C46FA FF015119
	v_mfma_f32_16x16x32_fp8_fp8 v[8:11], a[112:113], a[8:9], 0 // 000000004AE0: D3F30008 1A021170
	v_mfma_f32_16x16x32_fp8_fp8 v[8:11], a[114:115], a[10:11], v[8:11]// 000000004AE8: D3F30008 1C221572
	buffer_load_dwordx4 a[88:91], v45, s[24:27], 0 offen       // 000000004AF0: E05C1000 8086582D
	v_mfma_f32_16x16x32_fp8_fp8 v[8:11], a[116:117], a[12:13], v[8:11]// 000000004AF8: D3F30008 1C221974
	v_mfma_f32_16x16x32_fp8_fp8 v[8:11], a[118:119], a[14:15], v[8:11]// 000000004B00: D3F30008 1C221D76
	v_fma_f32 v60, v12, v4, v60                                // 000000004B08: D1CB003C 04F2090C
	v_fma_f32 v61, v13, v4, v61                                // 000000004B10: D1CB003D 04F6090D
	v_fma_f32 v62, v14, v4, v62                                // 000000004B18: D1CB003E 04FA090E
	v_fma_f32 v63, v15, v4, v63                                // 000000004B20: D1CB003F 04FE090F
	v_mfma_f32_16x16x32_fp8_fp8 v[12:15], a[120:121], a[8:9], 0// 000000004B28: D3F3000C 1A021178
	v_mfma_f32_16x16x32_fp8_fp8 v[12:15], a[122:123], a[10:11], v[12:15]// 000000004B30: D3F3000C 1C32157A
	buffer_load_dwordx4 a[92:95], v45, s[24:27], 0 offen offset:1024// 000000004B38: E05C1400 80865C2D
	buffer_load_dword v38, s[20:23], 0 offen lds               // 000000004B40: E0511000 80050026
	s_add_u32 m0, 0x100, s48                                   // 000000004B48: 807C30FF 00000100
	v_mfma_f32_16x16x32_fp8_fp8 v[12:15], a[124:125], a[12:13], v[12:15]// 000000004B50: D3F3000C 1C32197C
	v_mfma_f32_16x16x32_fp8_fp8 v[12:15], a[126:127], a[14:15], v[12:15]// 000000004B58: D3F3000C 1C321D7E
	buffer_load_dword v39, s[20:23], 0 offen lds               // 000000004B60: E0511000 80050027
	s_add_u32 m0, 0x200, s48                                   // 000000004B68: 807C30FF 00000200
	v_fma_f32 v68, v8, v6, v68                                 // 000000004B70: D1CB0044 05120D08
	v_fma_f32 v69, v9, v6, v69                                 // 000000004B78: D1CB0045 05160D09
	v_fma_f32 v70, v10, v6, v70                                // 000000004B80: D1CB0046 051A0D0A
	v_fma_f32 v71, v11, v6, v71                                // 000000004B88: D1CB0047 051E0D0B
	v_fma_f32 v76, v12, v6, v76                                // 000000004B90: D1CB004C 05320D0C
	v_fma_f32 v77, v13, v6, v77                                // 000000004B98: D1CB004D 05360D0D
	v_fma_f32 v78, v14, v6, v78                                // 000000004BA0: D1CB004E 053A0D0E
	v_fma_f32 v79, v15, v6, v79                                // 000000004BA8: D1CB004F 053E0D0F
	buffer_load_dword v40, s[20:23], 0 offen lds               // 000000004BB0: E0511000 80050028
	s_add_u32 m0, 0x300, s48                                   // 000000004BB8: 807C30FF 00000300
	buffer_load_dword v41, s[20:23], 0 offen lds               // 000000004BC0: E0511000 80050029
	s_add_u32 m0, 0, s49                                       // 000000004BC8: 807C3180
	buffer_load_dword v32, v30, s[28:31], 0 offen              // 000000004BCC: E0501000 8007201E
	buffer_load_dword v33, v31, s[28:31], 0 offen              // 000000004BD4: E0501000 8007211F
	s_waitcnt vmcnt(15)                                        // 000000004BDC: BF8C0F7F
	s_barrier                                                  // 000000004BE0: BF8A0000
	v_mul_f32_dpp v4, v28, v34 row_newbcast:0 row_mask:0xf bank_mask:0xf// 000000004BE4: 0A0844FA FF01501C
	v_mfma_f32_16x16x32_fp8_fp8 v[8:11], a[32:33], a[0:1], 0   // 000000004BEC: D3F30008 1A020120
	buffer_load_dword v29, v23, s[32:35], 0 offen              // 000000004BF4: E0501000 80081D17
	v_mfma_f32_16x16x32_fp8_fp8 v[8:11], a[34:35], a[2:3], v[8:11]// 000000004BFC: D3F30008 1C220522
	buffer_load_dwordx4 a[96:99], v42, s[84:87], 0 offen       // 000000004C04: E05C1000 8095602A
	v_mfma_f32_16x16x32_fp8_fp8 v[8:11], a[36:37], a[4:5], v[8:11]// 000000004C0C: D3F30008 1C220924
	v_mfma_f32_16x16x32_fp8_fp8 v[8:11], a[38:39], a[6:7], v[8:11]// 000000004C14: D3F30008 1C220D26
	ds_read_b128 a[16:19], v2 offset:8448                      // 000000004C1C: DBFE2100 10000002
	ds_read_b128 a[20:23], v2 offset:8512                      // 000000004C24: DBFE2140 14000002
	v_mfma_f32_16x16x32_fp8_fp8 v[12:15], a[40:41], a[0:1], 0  // 000000004C2C: D3F3000C 1A020128
	v_mfma_f32_16x16x32_fp8_fp8 v[12:15], a[42:43], a[2:3], v[12:15]// 000000004C34: D3F3000C 1C32052A
	buffer_load_dwordx4 a[100:103], v42, s[84:87], 0 offen offset:1024// 000000004C3C: E05C1400 8095642A
	v_mfma_f32_16x16x32_fp8_fp8 v[12:15], a[44:45], a[4:5], v[12:15]// 000000004C44: D3F3000C 1C32092C
	v_mfma_f32_16x16x32_fp8_fp8 v[12:15], a[46:47], a[6:7], v[12:15]// 000000004C4C: D3F3000C 1C320D2E
	ds_read_b128 a[24:27], v2 offset:8960                      // 000000004C54: DBFE2300 18000002
	ds_read_b128 a[28:31], v2 offset:9024                      // 000000004C5C: DBFE2340 1C000002
	v_fma_f32 v80, v8, v4, v80                                 // 000000004C64: D1CB0050 05420908
	v_fma_f32 v81, v9, v4, v81                                 // 000000004C6C: D1CB0051 05460909
	v_fma_f32 v82, v10, v4, v82                                // 000000004C74: D1CB0052 054A090A
	v_fma_f32 v83, v11, v4, v83                                // 000000004C7C: D1CB0053 054E090B
	v_mul_f32_dpp v6, v28, v34 row_newbcast:1 row_mask:0xf bank_mask:0xf// 000000004C84: 0A0C44FA FF01511C
	v_mfma_f32_16x16x32_fp8_fp8 v[8:11], a[48:49], a[0:1], 0   // 000000004C8C: D3F30008 1A020130
	v_mfma_f32_16x16x32_fp8_fp8 v[8:11], a[50:51], a[2:3], v[8:11]// 000000004C94: D3F30008 1C220532
	buffer_load_dwordx4 a[104:107], v43, s[84:87], 0 offen     // 000000004C9C: E05C1000 8095682B
	v_mfma_f32_16x16x32_fp8_fp8 v[8:11], a[52:53], a[4:5], v[8:11]// 000000004CA4: D3F30008 1C220934
	v_mfma_f32_16x16x32_fp8_fp8 v[8:11], a[54:55], a[6:7], v[8:11]// 000000004CAC: D3F30008 1C220D36
	v_fma_f32 v88, v12, v4, v88                                // 000000004CB4: D1CB0058 0562090C
	v_fma_f32 v89, v13, v4, v89                                // 000000004CBC: D1CB0059 0566090D
	v_fma_f32 v90, v14, v4, v90                                // 000000004CC4: D1CB005A 056A090E
	v_fma_f32 v91, v15, v4, v91                                // 000000004CCC: D1CB005B 056E090F
	v_mfma_f32_16x16x32_fp8_fp8 v[12:15], a[56:57], a[0:1], 0  // 000000004CD4: D3F3000C 1A020138
	v_mfma_f32_16x16x32_fp8_fp8 v[12:15], a[58:59], a[2:3], v[12:15]// 000000004CDC: D3F3000C 1C32053A
	buffer_load_dwordx4 a[108:111], v43, s[84:87], 0 offen offset:1024// 000000004CE4: E05C1400 80956C2B
	v_mfma_f32_16x16x32_fp8_fp8 v[12:15], a[60:61], a[4:5], v[12:15]// 000000004CEC: D3F3000C 1C32093C
	v_mfma_f32_16x16x32_fp8_fp8 v[12:15], a[62:63], a[6:7], v[12:15]// 000000004CF4: D3F3000C 1C320D3E
	v_fma_f32 v96, v8, v6, v96                                 // 000000004CFC: D1CB0060 05820D08
	v_fma_f32 v97, v9, v6, v97                                 // 000000004D04: D1CB0061 05860D09
	v_fma_f32 v98, v10, v6, v98                                // 000000004D0C: D1CB0062 058A0D0A
	v_fma_f32 v99, v11, v6, v99                                // 000000004D14: D1CB0063 058E0D0B
	v_mul_f32_dpp v4, v28, v35 row_newbcast:0 row_mask:0xf bank_mask:0xf// 000000004D1C: 0A0846FA FF01501C
	v_mfma_f32_16x16x32_fp8_fp8 v[8:11], a[32:33], a[8:9], 0   // 000000004D24: D3F30008 1A021120
	v_mfma_f32_16x16x32_fp8_fp8 v[8:11], a[34:35], a[10:11], v[8:11]// 000000004D2C: D3F30008 1C221522
	buffer_load_dwordx4 a[112:115], v44, s[84:87], 0 offen     // 000000004D34: E05C1000 8095702C
	v_mfma_f32_16x16x32_fp8_fp8 v[8:11], a[36:37], a[12:13], v[8:11]// 000000004D3C: D3F30008 1C221924
	v_mfma_f32_16x16x32_fp8_fp8 v[8:11], a[38:39], a[14:15], v[8:11]// 000000004D44: D3F30008 1C221D26
	v_fma_f32 v104, v12, v6, v104                              // 000000004D4C: D1CB0068 05A20D0C
	v_fma_f32 v105, v13, v6, v105                              // 000000004D54: D1CB0069 05A60D0D
	v_fma_f32 v106, v14, v6, v106                              // 000000004D5C: D1CB006A 05AA0D0E
	v_fma_f32 v107, v15, v6, v107                              // 000000004D64: D1CB006B 05AE0D0F
	v_mfma_f32_16x16x32_fp8_fp8 v[12:15], a[40:41], a[8:9], 0  // 000000004D6C: D3F3000C 1A021128
	v_mfma_f32_16x16x32_fp8_fp8 v[12:15], a[42:43], a[10:11], v[12:15]// 000000004D74: D3F3000C 1C32152A
	buffer_load_dwordx4 a[116:119], v44, s[84:87], 0 offen offset:1024// 000000004D7C: E05C1400 8095742C
	v_mfma_f32_16x16x32_fp8_fp8 v[12:15], a[44:45], a[12:13], v[12:15]// 000000004D84: D3F3000C 1C32192C
	v_mfma_f32_16x16x32_fp8_fp8 v[12:15], a[46:47], a[14:15], v[12:15]// 000000004D8C: D3F3000C 1C321D2E
	v_fma_f32 v84, v8, v4, v84                                 // 000000004D94: D1CB0054 05520908
	v_fma_f32 v85, v9, v4, v85                                 // 000000004D9C: D1CB0055 05560909
	v_fma_f32 v86, v10, v4, v86                                // 000000004DA4: D1CB0056 055A090A
	v_fma_f32 v87, v11, v4, v87                                // 000000004DAC: D1CB0057 055E090B
	v_mul_f32_dpp v6, v28, v35 row_newbcast:1 row_mask:0xf bank_mask:0xf// 000000004DB4: 0A0C46FA FF01511C
	v_mfma_f32_16x16x32_fp8_fp8 v[8:11], a[48:49], a[8:9], 0   // 000000004DBC: D3F30008 1A021130
	s_add_u32 s60, 0x180, s80                                  // 000000004DC4: 803C50FF 00000180
	s_cmp_lt_u32 s60, s81                                      // 000000004DCC: BF0A513C
	s_cselect_b32 s57, s57, 0                                  // 000000004DD0: 85398039
	s_cselect_b32 s3, s3, 0                                    // 000000004DD4: 85038003
	v_mfma_f32_16x16x32_fp8_fp8 v[8:11], a[50:51], a[10:11], v[8:11]// 000000004DD8: D3F30008 1C221532
	buffer_load_dwordx4 a[120:123], v45, s[84:87], 0 offen     // 000000004DE0: E05C1000 8095782D
	s_add_u32 s60, 0x100, s80                                  // 000000004DE8: 803C50FF 00000100
	s_cmp_lt_u32 s60, s81                                      // 000000004DF0: BF0A513C
	s_cselect_b32 s58, s58, 0                                  // 000000004DF4: 853A803A
	v_mfma_f32_16x16x32_fp8_fp8 v[8:11], a[52:53], a[12:13], v[8:11]// 000000004DF8: D3F30008 1C221934
	s_add_u32 s60, 0x100, s80                                  // 000000004E00: 803C50FF 00000100
	s_cmp_lt_u32 s60, s81                                      // 000000004E08: BF0A513C
	s_cselect_b32 s83, s83, 0                                  // 000000004E0C: 85538053
	s_cselect_b32 s4, s4, 0                                    // 000000004E10: 85048004
	v_mfma_f32_16x16x32_fp8_fp8 v[8:11], a[54:55], a[14:15], v[8:11]// 000000004E14: D3F30008 1C221D36
	s_add_u32 s24, s58, s24                                    // 000000004E1C: 8018183A
	s_addc_u32 s25, 0, s25                                     // 000000004E20: 82191980
	v_fma_f32 v92, v12, v4, v92                                // 000000004E24: D1CB005C 0572090C
	v_fma_f32 v93, v13, v4, v93                                // 000000004E2C: D1CB005D 0576090D
	v_fma_f32 v94, v14, v4, v94                                // 000000004E34: D1CB005E 057A090E
	v_fma_f32 v95, v15, v4, v95                                // 000000004E3C: D1CB005F 057E090F
	v_mfma_f32_16x16x32_fp8_fp8 v[12:15], a[56:57], a[8:9], 0  // 000000004E44: D3F3000C 1A021138
	s_add_u32 s20, s57, s20                                    // 000000004E4C: 80141439
	s_addc_u32 s21, 0, s21                                     // 000000004E50: 82151580
	s_add_u32 s28, s3, s28                                     // 000000004E54: 801C1C03
	s_addc_u32 s29, 0, s29                                     // 000000004E58: 821D1D80
	v_mfma_f32_16x16x32_fp8_fp8 v[12:15], a[58:59], a[10:11], v[12:15]// 000000004E5C: D3F3000C 1C32153A
	buffer_load_dwordx4 a[124:127], v45, s[84:87], 0 offen offset:1024// 000000004E64: E05C1400 80957C2D
	s_add_u32 s84, s83, s84                                    // 000000004E6C: 80545453
	s_addc_u32 s85, 0, s85                                     // 000000004E70: 82555580
	v_mfma_f32_16x16x32_fp8_fp8 v[12:15], a[60:61], a[12:13], v[12:15]// 000000004E74: D3F3000C 1C32193C
	s_add_u32 s32, s4, s32                                     // 000000004E7C: 80202004
	s_addc_u32 s33, 0, s33                                     // 000000004E80: 82212180
	v_mfma_f32_16x16x32_fp8_fp8 v[12:15], a[62:63], a[14:15], v[12:15]// 000000004E84: D3F3000C 1C321D3E
	v_fma_f32 v100, v8, v6, v100                               // 000000004E8C: D1CB0064 05920D08
	v_fma_f32 v101, v9, v6, v101                               // 000000004E94: D1CB0065 05960D09
	v_fma_f32 v102, v10, v6, v102                              // 000000004E9C: D1CB0066 059A0D0A
	v_fma_f32 v103, v11, v6, v103                              // 000000004EA4: D1CB0067 059E0D0B
	v_fma_f32 v108, v12, v6, v108                              // 000000004EAC: D1CB006C 05B20D0C
	v_fma_f32 v109, v13, v6, v109                              // 000000004EB4: D1CB006D 05B60D0D
	v_fma_f32 v110, v14, v6, v110                              // 000000004EBC: D1CB006E 05BA0D0E
	v_fma_f32 v111, v15, v6, v111                              // 000000004EC4: D1CB006F 05BE0D0F
	s_addk_i32 s80, 0x80                                       // 000000004ECC: B7500080
	s_cmp_lt_i32 s80, s81                                      // 000000004ED0: BF045150
	s_cbranch_scc0 label_0AA4                                  // 000000004ED4: BF84016E
	s_waitcnt vmcnt(15) lgkmcnt(0)                             // 000000004ED8: BF8C007F
	v_mul_f32_dpp v4, v26, v36 row_newbcast:0 row_mask:0xf bank_mask:0xf// 000000004EDC: 0A0848FA FF01501A
	v_mfma_f32_16x16x32_fp8_fp8 v[8:11], a[64:65], a[16:17], 0 // 000000004EE4: D3F30008 1A022140
	buffer_load_dword v24, v22, s[32:35], 0 offen              // 000000004EEC: E0501000 80081816
	v_mfma_f32_16x16x32_fp8_fp8 v[8:11], a[66:67], a[18:19], v[8:11]// 000000004EF4: D3F30008 1C222542
	buffer_load_dwordx4 a[32:35], v42, s[24:27], 0 offen       // 000000004EFC: E05C1000 8086202A
	v_mfma_f32_16x16x32_fp8_fp8 v[8:11], a[68:69], a[20:21], v[8:11]// 000000004F04: D3F30008 1C222944
	v_mfma_f32_16x16x32_fp8_fp8 v[8:11], a[70:71], a[22:23], v[8:11]// 000000004F0C: D3F30008 1C222D46
	v_mfma_f32_16x16x32_fp8_fp8 v[12:15], a[72:73], a[16:17], 0// 000000004F14: D3F3000C 1A022148
	v_mfma_f32_16x16x32_fp8_fp8 v[12:15], a[74:75], a[18:19], v[12:15]// 000000004F1C: D3F3000C 1C32254A
	buffer_load_dwordx4 a[36:39], v42, s[24:27], 0 offen offset:1024// 000000004F24: E05C1400 8086242A
	v_mfma_f32_16x16x32_fp8_fp8 v[12:15], a[76:77], a[20:21], v[12:15]// 000000004F2C: D3F3000C 1C32294C
	v_mfma_f32_16x16x32_fp8_fp8 v[12:15], a[78:79], a[22:23], v[12:15]// 000000004F34: D3F3000C 1C322D4E
	v_fma_f32 v48, v8, v4, v48                                 // 000000004F3C: D1CB0030 04C20908
	v_fma_f32 v49, v9, v4, v49                                 // 000000004F44: D1CB0031 04C60909
	v_fma_f32 v50, v10, v4, v50                                // 000000004F4C: D1CB0032 04CA090A
	v_fma_f32 v51, v11, v4, v51                                // 000000004F54: D1CB0033 04CE090B
	v_mul_f32_dpp v6, v26, v36 row_newbcast:1 row_mask:0xf bank_mask:0xf// 000000004F5C: 0A0C48FA FF01511A
	v_mfma_f32_16x16x32_fp8_fp8 v[8:11], a[80:81], a[16:17], 0 // 000000004F64: D3F30008 1A022150
	v_mfma_f32_16x16x32_fp8_fp8 v[8:11], a[82:83], a[18:19], v[8:11]// 000000004F6C: D3F30008 1C222552
	buffer_load_dwordx4 a[40:43], v43, s[24:27], 0 offen       // 000000004F74: E05C1000 8086282B
	v_mfma_f32_16x16x32_fp8_fp8 v[8:11], a[84:85], a[20:21], v[8:11]// 000000004F7C: D3F30008 1C222954
	v_mfma_f32_16x16x32_fp8_fp8 v[8:11], a[86:87], a[22:23], v[8:11]// 000000004F84: D3F30008 1C222D56
	v_fma_f32 v56, v12, v4, v56                                // 000000004F8C: D1CB0038 04E2090C
	v_fma_f32 v57, v13, v4, v57                                // 000000004F94: D1CB0039 04E6090D
	v_fma_f32 v58, v14, v4, v58                                // 000000004F9C: D1CB003A 04EA090E
	v_fma_f32 v59, v15, v4, v59                                // 000000004FA4: D1CB003B 04EE090F
	v_mfma_f32_16x16x32_fp8_fp8 v[12:15], a[88:89], a[16:17], 0// 000000004FAC: D3F3000C 1A022158
	v_mfma_f32_16x16x32_fp8_fp8 v[12:15], a[90:91], a[18:19], v[12:15]// 000000004FB4: D3F3000C 1C32255A
	buffer_load_dwordx4 a[44:47], v43, s[24:27], 0 offen offset:1024// 000000004FBC: E05C1400 80862C2B
	v_mfma_f32_16x16x32_fp8_fp8 v[12:15], a[92:93], a[20:21], v[12:15]// 000000004FC4: D3F3000C 1C32295C
	v_mfma_f32_16x16x32_fp8_fp8 v[12:15], a[94:95], a[22:23], v[12:15]// 000000004FCC: D3F3000C 1C322D5E
	v_fma_f32 v64, v8, v6, v64                                 // 000000004FD4: D1CB0040 05020D08
	v_fma_f32 v65, v9, v6, v65                                 // 000000004FDC: D1CB0041 05060D09
	v_fma_f32 v66, v10, v6, v66                                // 000000004FE4: D1CB0042 050A0D0A
	v_fma_f32 v67, v11, v6, v67                                // 000000004FEC: D1CB0043 050E0D0B
	v_mul_f32_dpp v4, v26, v37 row_newbcast:0 row_mask:0xf bank_mask:0xf// 000000004FF4: 0A084AFA FF01501A
	v_mfma_f32_16x16x32_fp8_fp8 v[8:11], a[64:65], a[24:25], 0 // 000000004FFC: D3F30008 1A023140
	v_mfma_f32_16x16x32_fp8_fp8 v[8:11], a[66:67], a[26:27], v[8:11]// 000000005004: D3F30008 1C223542
	buffer_load_dwordx4 a[48:51], v44, s[24:27], 0 offen       // 00000000500C: E05C1000 8086302C
	v_mfma_f32_16x16x32_fp8_fp8 v[8:11], a[68:69], a[28:29], v[8:11]// 000000005014: D3F30008 1C223944
	v_mfma_f32_16x16x32_fp8_fp8 v[8:11], a[70:71], a[30:31], v[8:11]// 00000000501C: D3F30008 1C223D46
	v_fma_f32 v72, v12, v6, v72                                // 000000005024: D1CB0048 05220D0C
	v_fma_f32 v73, v13, v6, v73                                // 00000000502C: D1CB0049 05260D0D
	v_fma_f32 v74, v14, v6, v74                                // 000000005034: D1CB004A 052A0D0E
	v_fma_f32 v75, v15, v6, v75                                // 00000000503C: D1CB004B 052E0D0F
	v_mfma_f32_16x16x32_fp8_fp8 v[12:15], a[72:73], a[24:25], 0// 000000005044: D3F3000C 1A023148
	v_mfma_f32_16x16x32_fp8_fp8 v[12:15], a[74:75], a[26:27], v[12:15]// 00000000504C: D3F3000C 1C32354A
	buffer_load_dwordx4 a[52:55], v44, s[24:27], 0 offen offset:1024// 000000005054: E05C1400 8086342C
	v_mfma_f32_16x16x32_fp8_fp8 v[12:15], a[76:77], a[28:29], v[12:15]// 00000000505C: D3F3000C 1C32394C
	v_mfma_f32_16x16x32_fp8_fp8 v[12:15], a[78:79], a[30:31], v[12:15]// 000000005064: D3F3000C 1C323D4E
	v_fma_f32 v52, v8, v4, v52                                 // 00000000506C: D1CB0034 04D20908
	v_fma_f32 v53, v9, v4, v53                                 // 000000005074: D1CB0035 04D60909
	v_fma_f32 v54, v10, v4, v54                                // 00000000507C: D1CB0036 04DA090A
	v_fma_f32 v55, v11, v4, v55                                // 000000005084: D1CB0037 04DE090B
	v_mul_f32_dpp v6, v26, v37 row_newbcast:1 row_mask:0xf bank_mask:0xf// 00000000508C: 0A0C4AFA FF01511A
	v_mfma_f32_16x16x32_fp8_fp8 v[8:11], a[80:81], a[24:25], 0 // 000000005094: D3F30008 1A023150
	v_mfma_f32_16x16x32_fp8_fp8 v[8:11], a[82:83], a[26:27], v[8:11]// 00000000509C: D3F30008 1C223552
	buffer_load_dwordx4 a[56:59], v45, s[24:27], 0 offen       // 0000000050A4: E05C1000 8086382D
	v_mfma_f32_16x16x32_fp8_fp8 v[8:11], a[84:85], a[28:29], v[8:11]// 0000000050AC: D3F30008 1C223954
	v_mfma_f32_16x16x32_fp8_fp8 v[8:11], a[86:87], a[30:31], v[8:11]// 0000000050B4: D3F30008 1C223D56
	v_fma_f32 v60, v12, v4, v60                                // 0000000050BC: D1CB003C 04F2090C
	v_fma_f32 v61, v13, v4, v61                                // 0000000050C4: D1CB003D 04F6090D
	v_fma_f32 v62, v14, v4, v62                                // 0000000050CC: D1CB003E 04FA090E
	v_fma_f32 v63, v15, v4, v63                                // 0000000050D4: D1CB003F 04FE090F
	v_mfma_f32_16x16x32_fp8_fp8 v[12:15], a[88:89], a[24:25], 0// 0000000050DC: D3F3000C 1A023158
	v_mfma_f32_16x16x32_fp8_fp8 v[12:15], a[90:91], a[26:27], v[12:15]// 0000000050E4: D3F3000C 1C32355A
	buffer_load_dwordx4 a[60:63], v45, s[24:27], 0 offen offset:1024// 0000000050EC: E05C1400 80863C2D
	buffer_load_dword v38, s[20:23], 0 offen lds               // 0000000050F4: E0511000 80050026
	s_add_u32 m0, 0x100, s49                                   // 0000000050FC: 807C31FF 00000100
	v_mfma_f32_16x16x32_fp8_fp8 v[12:15], a[92:93], a[28:29], v[12:15]// 000000005104: D3F3000C 1C32395C
	v_mfma_f32_16x16x32_fp8_fp8 v[12:15], a[94:95], a[30:31], v[12:15]// 00000000510C: D3F3000C 1C323D5E
	buffer_load_dword v39, s[20:23], 0 offen lds               // 000000005114: E0511000 80050027
	s_add_u32 m0, 0x200, s49                                   // 00000000511C: 807C31FF 00000200
	v_fma_f32 v68, v8, v6, v68                                 // 000000005124: D1CB0044 05120D08
	v_fma_f32 v69, v9, v6, v69                                 // 00000000512C: D1CB0045 05160D09
	v_fma_f32 v70, v10, v6, v70                                // 000000005134: D1CB0046 051A0D0A
	v_fma_f32 v71, v11, v6, v71                                // 00000000513C: D1CB0047 051E0D0B
	v_fma_f32 v76, v12, v6, v76                                // 000000005144: D1CB004C 05320D0C
	v_fma_f32 v77, v13, v6, v77                                // 00000000514C: D1CB004D 05360D0D
	v_fma_f32 v78, v14, v6, v78                                // 000000005154: D1CB004E 053A0D0E
	v_fma_f32 v79, v15, v6, v79                                // 00000000515C: D1CB004F 053E0D0F
	buffer_load_dword v40, s[20:23], 0 offen lds               // 000000005164: E0511000 80050028
	s_add_u32 m0, 0x300, s49                                   // 00000000516C: 807C31FF 00000300
	buffer_load_dword v41, s[20:23], 0 offen lds               // 000000005174: E0511000 80050029
	s_add_u32 m0, 0, s50                                       // 00000000517C: 807C3280
	buffer_load_dword v34, v30, s[28:31], 0 offen              // 000000005180: E0501000 8007221E
	buffer_load_dword v35, v31, s[28:31], 0 offen              // 000000005188: E0501000 8007231F
	s_waitcnt vmcnt(15)                                        // 000000005190: BF8C0F7F
	s_barrier                                                  // 000000005194: BF8A0000
	v_mul_f32_dpp v4, v29, v36 row_newbcast:0 row_mask:0xf bank_mask:0xf// 000000005198: 0A0848FA FF01501D
	v_mfma_f32_16x16x32_fp8_fp8 v[8:11], a[96:97], a[16:17], 0 // 0000000051A0: D3F30008 1A022160
	buffer_load_dword v27, v23, s[32:35], 0 offen              // 0000000051A8: E0501000 80081B17
	v_mfma_f32_16x16x32_fp8_fp8 v[8:11], a[98:99], a[18:19], v[8:11]// 0000000051B0: D3F30008 1C222562
	buffer_load_dwordx4 a[64:67], v42, s[84:87], 0 offen       // 0000000051B8: E05C1000 8095402A
	v_mfma_f32_16x16x32_fp8_fp8 v[8:11], a[100:101], a[20:21], v[8:11]// 0000000051C0: D3F30008 1C222964
	v_mfma_f32_16x16x32_fp8_fp8 v[8:11], a[102:103], a[22:23], v[8:11]// 0000000051C8: D3F30008 1C222D66
	ds_read_b128 a[0:3], v2                                    // 0000000051D0: DBFE0000 00000002
	ds_read_b128 a[4:7], v2 offset:64                          // 0000000051D8: DBFE0040 04000002
	v_mfma_f32_16x16x32_fp8_fp8 v[12:15], a[104:105], a[16:17], 0// 0000000051E0: D3F3000C 1A022168
	v_mfma_f32_16x16x32_fp8_fp8 v[12:15], a[106:107], a[18:19], v[12:15]// 0000000051E8: D3F3000C 1C32256A
	buffer_load_dwordx4 a[68:71], v42, s[84:87], 0 offen offset:1024// 0000000051F0: E05C1400 8095442A
	v_mfma_f32_16x16x32_fp8_fp8 v[12:15], a[108:109], a[20:21], v[12:15]// 0000000051F8: D3F3000C 1C32296C
	v_mfma_f32_16x16x32_fp8_fp8 v[12:15], a[110:111], a[22:23], v[12:15]// 000000005200: D3F3000C 1C322D6E
	ds_read_b128 a[8:11], v2 offset:512                        // 000000005208: DBFE0200 08000002
	ds_read_b128 a[12:15], v2 offset:576                       // 000000005210: DBFE0240 0C000002
	v_fma_f32 v80, v8, v4, v80                                 // 000000005218: D1CB0050 05420908
	v_fma_f32 v81, v9, v4, v81                                 // 000000005220: D1CB0051 05460909
	v_fma_f32 v82, v10, v4, v82                                // 000000005228: D1CB0052 054A090A
	v_fma_f32 v83, v11, v4, v83                                // 000000005230: D1CB0053 054E090B
	v_mul_f32_dpp v6, v29, v36 row_newbcast:1 row_mask:0xf bank_mask:0xf// 000000005238: 0A0C48FA FF01511D
	v_mfma_f32_16x16x32_fp8_fp8 v[8:11], a[112:113], a[16:17], 0// 000000005240: D3F30008 1A022170
	v_mfma_f32_16x16x32_fp8_fp8 v[8:11], a[114:115], a[18:19], v[8:11]// 000000005248: D3F30008 1C222572
	buffer_load_dwordx4 a[72:75], v43, s[84:87], 0 offen       // 000000005250: E05C1000 8095482B
	v_mfma_f32_16x16x32_fp8_fp8 v[8:11], a[116:117], a[20:21], v[8:11]// 000000005258: D3F30008 1C222974
	v_mfma_f32_16x16x32_fp8_fp8 v[8:11], a[118:119], a[22:23], v[8:11]// 000000005260: D3F30008 1C222D76
	v_fma_f32 v88, v12, v4, v88                                // 000000005268: D1CB0058 0562090C
	v_fma_f32 v89, v13, v4, v89                                // 000000005270: D1CB0059 0566090D
	v_fma_f32 v90, v14, v4, v90                                // 000000005278: D1CB005A 056A090E
	v_fma_f32 v91, v15, v4, v91                                // 000000005280: D1CB005B 056E090F
	v_mfma_f32_16x16x32_fp8_fp8 v[12:15], a[120:121], a[16:17], 0// 000000005288: D3F3000C 1A022178
	v_mfma_f32_16x16x32_fp8_fp8 v[12:15], a[122:123], a[18:19], v[12:15]// 000000005290: D3F3000C 1C32257A
	buffer_load_dwordx4 a[76:79], v43, s[84:87], 0 offen offset:1024// 000000005298: E05C1400 80954C2B
	v_mfma_f32_16x16x32_fp8_fp8 v[12:15], a[124:125], a[20:21], v[12:15]// 0000000052A0: D3F3000C 1C32297C
	v_mfma_f32_16x16x32_fp8_fp8 v[12:15], a[126:127], a[22:23], v[12:15]// 0000000052A8: D3F3000C 1C322D7E
	v_fma_f32 v96, v8, v6, v96                                 // 0000000052B0: D1CB0060 05820D08
	v_fma_f32 v97, v9, v6, v97                                 // 0000000052B8: D1CB0061 05860D09
	v_fma_f32 v98, v10, v6, v98                                // 0000000052C0: D1CB0062 058A0D0A
	v_fma_f32 v99, v11, v6, v99                                // 0000000052C8: D1CB0063 058E0D0B
	v_mul_f32_dpp v4, v29, v37 row_newbcast:0 row_mask:0xf bank_mask:0xf// 0000000052D0: 0A084AFA FF01501D
	v_mfma_f32_16x16x32_fp8_fp8 v[8:11], a[96:97], a[24:25], 0 // 0000000052D8: D3F30008 1A023160
	v_mfma_f32_16x16x32_fp8_fp8 v[8:11], a[98:99], a[26:27], v[8:11]// 0000000052E0: D3F30008 1C223562
	buffer_load_dwordx4 a[80:83], v44, s[84:87], 0 offen       // 0000000052E8: E05C1000 8095502C
	v_mfma_f32_16x16x32_fp8_fp8 v[8:11], a[100:101], a[28:29], v[8:11]// 0000000052F0: D3F30008 1C223964
	v_mfma_f32_16x16x32_fp8_fp8 v[8:11], a[102:103], a[30:31], v[8:11]// 0000000052F8: D3F30008 1C223D66
	v_fma_f32 v104, v12, v6, v104                              // 000000005300: D1CB0068 05A20D0C
	v_fma_f32 v105, v13, v6, v105                              // 000000005308: D1CB0069 05A60D0D
	v_fma_f32 v106, v14, v6, v106                              // 000000005310: D1CB006A 05AA0D0E
	v_fma_f32 v107, v15, v6, v107                              // 000000005318: D1CB006B 05AE0D0F
	v_mfma_f32_16x16x32_fp8_fp8 v[12:15], a[104:105], a[24:25], 0// 000000005320: D3F3000C 1A023168
	v_mfma_f32_16x16x32_fp8_fp8 v[12:15], a[106:107], a[26:27], v[12:15]// 000000005328: D3F3000C 1C32356A
	buffer_load_dwordx4 a[84:87], v44, s[84:87], 0 offen offset:1024// 000000005330: E05C1400 8095542C
	v_mfma_f32_16x16x32_fp8_fp8 v[12:15], a[108:109], a[28:29], v[12:15]// 000000005338: D3F3000C 1C32396C
	v_mfma_f32_16x16x32_fp8_fp8 v[12:15], a[110:111], a[30:31], v[12:15]// 000000005340: D3F3000C 1C323D6E
	v_fma_f32 v84, v8, v4, v84                                 // 000000005348: D1CB0054 05520908
	v_fma_f32 v85, v9, v4, v85                                 // 000000005350: D1CB0055 05560909
	v_fma_f32 v86, v10, v4, v86                                // 000000005358: D1CB0056 055A090A
	v_fma_f32 v87, v11, v4, v87                                // 000000005360: D1CB0057 055E090B
	v_mul_f32_dpp v6, v29, v37 row_newbcast:1 row_mask:0xf bank_mask:0xf// 000000005368: 0A0C4AFA FF01511D
	v_mfma_f32_16x16x32_fp8_fp8 v[8:11], a[112:113], a[24:25], 0// 000000005370: D3F30008 1A023170
	s_add_u32 s60, 0x180, s80                                  // 000000005378: 803C50FF 00000180
	s_cmp_lt_u32 s60, s81                                      // 000000005380: BF0A513C
	s_cselect_b32 s57, s57, 0                                  // 000000005384: 85398039
	s_cselect_b32 s3, s3, 0                                    // 000000005388: 85038003
	v_mfma_f32_16x16x32_fp8_fp8 v[8:11], a[114:115], a[26:27], v[8:11]// 00000000538C: D3F30008 1C223572
	buffer_load_dwordx4 a[88:91], v45, s[84:87], 0 offen       // 000000005394: E05C1000 8095582D
	s_add_u32 s60, 0x100, s80                                  // 00000000539C: 803C50FF 00000100
	s_cmp_lt_u32 s60, s81                                      // 0000000053A4: BF0A513C
	s_cselect_b32 s58, s58, 0                                  // 0000000053A8: 853A803A
	v_mfma_f32_16x16x32_fp8_fp8 v[8:11], a[116:117], a[28:29], v[8:11]// 0000000053AC: D3F30008 1C223974
	s_add_u32 s60, 0x100, s80                                  // 0000000053B4: 803C50FF 00000100
	s_cmp_lt_u32 s60, s81                                      // 0000000053BC: BF0A513C
	s_cselect_b32 s83, s83, 0                                  // 0000000053C0: 85538053
	s_cselect_b32 s4, s4, 0                                    // 0000000053C4: 85048004
	v_mfma_f32_16x16x32_fp8_fp8 v[8:11], a[118:119], a[30:31], v[8:11]// 0000000053C8: D3F30008 1C223D76
	s_add_u32 s24, s58, s24                                    // 0000000053D0: 8018183A
	s_addc_u32 s25, 0, s25                                     // 0000000053D4: 82191980
	v_fma_f32 v92, v12, v4, v92                                // 0000000053D8: D1CB005C 0572090C
	v_fma_f32 v93, v13, v4, v93                                // 0000000053E0: D1CB005D 0576090D
	v_fma_f32 v94, v14, v4, v94                                // 0000000053E8: D1CB005E 057A090E
	v_fma_f32 v95, v15, v4, v95                                // 0000000053F0: D1CB005F 057E090F
	v_mfma_f32_16x16x32_fp8_fp8 v[12:15], a[120:121], a[24:25], 0// 0000000053F8: D3F3000C 1A023178
	s_add_u32 s20, s57, s20                                    // 000000005400: 80141439
	s_addc_u32 s21, 0, s21                                     // 000000005404: 82151580
	s_add_u32 s28, s3, s28                                     // 000000005408: 801C1C03
	s_addc_u32 s29, 0, s29                                     // 00000000540C: 821D1D80
	v_mfma_f32_16x16x32_fp8_fp8 v[12:15], a[122:123], a[26:27], v[12:15]// 000000005410: D3F3000C 1C32357A
	buffer_load_dwordx4 a[92:95], v45, s[84:87], 0 offen offset:1024// 000000005418: E05C1400 80955C2D
	s_add_u32 s84, s83, s84                                    // 000000005420: 80545453
	s_addc_u32 s85, 0, s85                                     // 000000005424: 82555580
	v_mfma_f32_16x16x32_fp8_fp8 v[12:15], a[124:125], a[28:29], v[12:15]// 000000005428: D3F3000C 1C32397C
	s_add_u32 s32, s4, s32                                     // 000000005430: 80202004
	s_addc_u32 s33, 0, s33                                     // 000000005434: 82212180
	v_mfma_f32_16x16x32_fp8_fp8 v[12:15], a[126:127], a[30:31], v[12:15]// 000000005438: D3F3000C 1C323D7E
	v_fma_f32 v100, v8, v6, v100                               // 000000005440: D1CB0064 05920D08
	v_fma_f32 v101, v9, v6, v101                               // 000000005448: D1CB0065 05960D09
	v_fma_f32 v102, v10, v6, v102                              // 000000005450: D1CB0066 059A0D0A
	v_fma_f32 v103, v11, v6, v103                              // 000000005458: D1CB0067 059E0D0B
	v_fma_f32 v108, v12, v6, v108                              // 000000005460: D1CB006C 05B20D0C
	v_fma_f32 v109, v13, v6, v109                              // 000000005468: D1CB006D 05B60D0D
	v_fma_f32 v110, v14, v6, v110                              // 000000005470: D1CB006E 05BA0D0E
	v_fma_f32 v111, v15, v6, v111                              // 000000005478: D1CB006F 05BE0D0F
	s_addk_i32 s80, 0x80                                       // 000000005480: B7500080
	s_cmp_lt_i32 s80, s81                                      // 000000005484: BF045150
	s_cbranch_scc0 label_0AA4                                  // 000000005488: BF840001
	s_branch label_0215                                        // 00000000548C: BF82F771

0000000000005490 <label_0AA4>:
	s_cmp_eq_u32 s88, 0                                        // 000000005490: BF068058
	s_cbranch_scc0 label_0F75                                  // 000000005494: BF8404CF
	s_cmp_eq_u32 s89, 0                                        // 000000005498: BF068059
	s_cbranch_scc1 label_0BED                                  // 00000000549C: BF850145
	v_mov_b32_e32 v8, v1                                       // 0000000054A0: 7E100301
	v_mov_b32_e32 v9, v1                                       // 0000000054A4: 7E120301
	s_mov_b32 s60, s6                                          // 0000000054A8: BEBC0006
	s_mov_b32 s61, s6                                          // 0000000054AC: BEBD0006
	v_pk_mul_f32 v[4:5], v[48:49], v[48:49]                    // 0000000054B0: D3B14004 18026130
	v_pk_mul_f32 v[6:7], v[50:51], v[50:51]                    // 0000000054B8: D3B14006 18026532
	v_pk_fma_f32 v[4:5], v[4:5], s[78:79], v[8:9]              // 0000000054C0: D3B04004 1C209D04
	v_pk_fma_f32 v[6:7], v[6:7], s[78:79], v[8:9]              // 0000000054C8: D3B04006 1C209D06
	v_pk_mul_f32 v[4:5], v[4:5], v[48:49]                      // 0000000054D0: D3B14004 18026104
	v_pk_mul_f32 v[6:7], v[6:7], v[50:51]                      // 0000000054D8: D3B14006 18026506
	v_pk_mul_f32 v[4:5], v[4:5], s[60:61]                      // 0000000054E0: D3B14004 18007904
	v_pk_mul_f32 v[6:7], v[6:7], s[60:61]                      // 0000000054E8: D3B14006 18007906
	v_exp_f32_e32 v4, v4                                       // 0000000054F0: 7E084104
	v_exp_f32_e32 v5, v5                                       // 0000000054F4: 7E0A4105
	v_exp_f32_e32 v6, v6                                       // 0000000054F8: 7E0C4106
	v_exp_f32_e32 v7, v7                                       // 0000000054FC: 7E0E4107
	v_add_f32_e64 v4, v4, 1.0                                  // 000000005500: D1010004 0001E504
	v_add_f32_e64 v5, v5, 1.0                                  // 000000005508: D1010005 0001E505
	v_add_f32_e64 v6, v6, 1.0                                  // 000000005510: D1010006 0001E506
	v_add_f32_e64 v7, v7, 1.0                                  // 000000005518: D1010007 0001E507
	v_rcp_f32_e32 v4, v4                                       // 000000005520: 7E084504
	v_rcp_f32_e32 v5, v5                                       // 000000005524: 7E0A4505
	v_rcp_f32_e32 v6, v6                                       // 000000005528: 7E0C4506
	v_rcp_f32_e32 v7, v7                                       // 00000000552C: 7E0E4507
	v_mul_f32_e32 v48, v48, v4                                 // 000000005530: 0A600930
	v_mul_f32_e32 v49, v49, v5                                 // 000000005534: 0A620B31
	v_mul_f32_e32 v50, v50, v6                                 // 000000005538: 0A640D32
	v_mul_f32_e32 v51, v51, v7                                 // 00000000553C: 0A660F33
	v_mul_f32_e32 v48, v48, v80                                // 000000005540: 0A60A130
	v_mul_f32_e32 v49, v49, v81                                // 000000005544: 0A62A331
	v_mul_f32_e32 v50, v50, v82                                // 000000005548: 0A64A532
	v_mul_f32_e32 v51, v51, v83                                // 00000000554C: 0A66A733
	v_pk_mul_f32 v[4:5], v[52:53], v[52:53]                    // 000000005550: D3B14004 18026934
	v_pk_mul_f32 v[6:7], v[54:55], v[54:55]                    // 000000005558: D3B14006 18026D36
	v_pk_fma_f32 v[4:5], v[4:5], s[78:79], v[8:9]              // 000000005560: D3B04004 1C209D04
	v_pk_fma_f32 v[6:7], v[6:7], s[78:79], v[8:9]              // 000000005568: D3B04006 1C209D06
	v_pk_mul_f32 v[4:5], v[4:5], v[52:53]                      // 000000005570: D3B14004 18026904
	v_pk_mul_f32 v[6:7], v[6:7], v[54:55]                      // 000000005578: D3B14006 18026D06
	v_pk_mul_f32 v[4:5], v[4:5], s[60:61]                      // 000000005580: D3B14004 18007904
	v_pk_mul_f32 v[6:7], v[6:7], s[60:61]                      // 000000005588: D3B14006 18007906
	v_exp_f32_e32 v4, v4                                       // 000000005590: 7E084104
	v_exp_f32_e32 v5, v5                                       // 000000005594: 7E0A4105
	v_exp_f32_e32 v6, v6                                       // 000000005598: 7E0C4106
	v_exp_f32_e32 v7, v7                                       // 00000000559C: 7E0E4107
	v_add_f32_e64 v4, v4, 1.0                                  // 0000000055A0: D1010004 0001E504
	v_add_f32_e64 v5, v5, 1.0                                  // 0000000055A8: D1010005 0001E505
	v_add_f32_e64 v6, v6, 1.0                                  // 0000000055B0: D1010006 0001E506
	v_add_f32_e64 v7, v7, 1.0                                  // 0000000055B8: D1010007 0001E507
	v_rcp_f32_e32 v4, v4                                       // 0000000055C0: 7E084504
	v_rcp_f32_e32 v5, v5                                       // 0000000055C4: 7E0A4505
	v_rcp_f32_e32 v6, v6                                       // 0000000055C8: 7E0C4506
	v_rcp_f32_e32 v7, v7                                       // 0000000055CC: 7E0E4507
	v_mul_f32_e32 v52, v52, v4                                 // 0000000055D0: 0A680934
	v_mul_f32_e32 v53, v53, v5                                 // 0000000055D4: 0A6A0B35
	v_mul_f32_e32 v54, v54, v6                                 // 0000000055D8: 0A6C0D36
	v_mul_f32_e32 v55, v55, v7                                 // 0000000055DC: 0A6E0F37
	v_mul_f32_e32 v52, v52, v84                                // 0000000055E0: 0A68A934
	v_mul_f32_e32 v53, v53, v85                                // 0000000055E4: 0A6AAB35
	v_mul_f32_e32 v54, v54, v86                                // 0000000055E8: 0A6CAD36
	v_mul_f32_e32 v55, v55, v87                                // 0000000055EC: 0A6EAF37
	v_pk_mul_f32 v[4:5], v[56:57], v[56:57]                    // 0000000055F0: D3B14004 18027138
	v_pk_mul_f32 v[6:7], v[58:59], v[58:59]                    // 0000000055F8: D3B14006 1802753A
	v_pk_fma_f32 v[4:5], v[4:5], s[78:79], v[8:9]              // 000000005600: D3B04004 1C209D04
	v_pk_fma_f32 v[6:7], v[6:7], s[78:79], v[8:9]              // 000000005608: D3B04006 1C209D06
	v_pk_mul_f32 v[4:5], v[4:5], v[56:57]                      // 000000005610: D3B14004 18027104
	v_pk_mul_f32 v[6:7], v[6:7], v[58:59]                      // 000000005618: D3B14006 18027506
	v_pk_mul_f32 v[4:5], v[4:5], s[60:61]                      // 000000005620: D3B14004 18007904
	v_pk_mul_f32 v[6:7], v[6:7], s[60:61]                      // 000000005628: D3B14006 18007906
	v_exp_f32_e32 v4, v4                                       // 000000005630: 7E084104
	v_exp_f32_e32 v5, v5                                       // 000000005634: 7E0A4105
	v_exp_f32_e32 v6, v6                                       // 000000005638: 7E0C4106
	v_exp_f32_e32 v7, v7                                       // 00000000563C: 7E0E4107
	v_add_f32_e64 v4, v4, 1.0                                  // 000000005640: D1010004 0001E504
	v_add_f32_e64 v5, v5, 1.0                                  // 000000005648: D1010005 0001E505
	v_add_f32_e64 v6, v6, 1.0                                  // 000000005650: D1010006 0001E506
	v_add_f32_e64 v7, v7, 1.0                                  // 000000005658: D1010007 0001E507
	v_rcp_f32_e32 v4, v4                                       // 000000005660: 7E084504
	v_rcp_f32_e32 v5, v5                                       // 000000005664: 7E0A4505
	v_rcp_f32_e32 v6, v6                                       // 000000005668: 7E0C4506
	v_rcp_f32_e32 v7, v7                                       // 00000000566C: 7E0E4507
	v_mul_f32_e32 v56, v56, v4                                 // 000000005670: 0A700938
	v_mul_f32_e32 v57, v57, v5                                 // 000000005674: 0A720B39
	v_mul_f32_e32 v58, v58, v6                                 // 000000005678: 0A740D3A
	v_mul_f32_e32 v59, v59, v7                                 // 00000000567C: 0A760F3B
	v_mul_f32_e32 v56, v56, v88                                // 000000005680: 0A70B138
	v_mul_f32_e32 v57, v57, v89                                // 000000005684: 0A72B339
	v_mul_f32_e32 v58, v58, v90                                // 000000005688: 0A74B53A
	v_mul_f32_e32 v59, v59, v91                                // 00000000568C: 0A76B73B
	v_pk_mul_f32 v[4:5], v[60:61], v[60:61]                    // 000000005690: D3B14004 1802793C
	v_pk_mul_f32 v[6:7], v[62:63], v[62:63]                    // 000000005698: D3B14006 18027D3E
	v_pk_fma_f32 v[4:5], v[4:5], s[78:79], v[8:9]              // 0000000056A0: D3B04004 1C209D04
	v_pk_fma_f32 v[6:7], v[6:7], s[78:79], v[8:9]              // 0000000056A8: D3B04006 1C209D06
	v_pk_mul_f32 v[4:5], v[4:5], v[60:61]                      // 0000000056B0: D3B14004 18027904
	v_pk_mul_f32 v[6:7], v[6:7], v[62:63]                      // 0000000056B8: D3B14006 18027D06
	v_pk_mul_f32 v[4:5], v[4:5], s[60:61]                      // 0000000056C0: D3B14004 18007904
	v_pk_mul_f32 v[6:7], v[6:7], s[60:61]                      // 0000000056C8: D3B14006 18007906
	v_exp_f32_e32 v4, v4                                       // 0000000056D0: 7E084104
	v_exp_f32_e32 v5, v5                                       // 0000000056D4: 7E0A4105
	v_exp_f32_e32 v6, v6                                       // 0000000056D8: 7E0C4106
	v_exp_f32_e32 v7, v7                                       // 0000000056DC: 7E0E4107
	v_add_f32_e64 v4, v4, 1.0                                  // 0000000056E0: D1010004 0001E504
	v_add_f32_e64 v5, v5, 1.0                                  // 0000000056E8: D1010005 0001E505
	v_add_f32_e64 v6, v6, 1.0                                  // 0000000056F0: D1010006 0001E506
	v_add_f32_e64 v7, v7, 1.0                                  // 0000000056F8: D1010007 0001E507
	v_rcp_f32_e32 v4, v4                                       // 000000005700: 7E084504
	v_rcp_f32_e32 v5, v5                                       // 000000005704: 7E0A4505
	v_rcp_f32_e32 v6, v6                                       // 000000005708: 7E0C4506
	v_rcp_f32_e32 v7, v7                                       // 00000000570C: 7E0E4507
	v_mul_f32_e32 v60, v60, v4                                 // 000000005710: 0A78093C
	v_mul_f32_e32 v61, v61, v5                                 // 000000005714: 0A7A0B3D
	v_mul_f32_e32 v62, v62, v6                                 // 000000005718: 0A7C0D3E
	v_mul_f32_e32 v63, v63, v7                                 // 00000000571C: 0A7E0F3F
	v_mul_f32_e32 v60, v60, v92                                // 000000005720: 0A78B93C
	v_mul_f32_e32 v61, v61, v93                                // 000000005724: 0A7ABB3D
	v_mul_f32_e32 v62, v62, v94                                // 000000005728: 0A7CBD3E
	v_mul_f32_e32 v63, v63, v95                                // 00000000572C: 0A7EBF3F
	v_pk_mul_f32 v[4:5], v[64:65], v[64:65]                    // 000000005730: D3B14004 18028140
	v_pk_mul_f32 v[6:7], v[66:67], v[66:67]                    // 000000005738: D3B14006 18028542
	v_pk_fma_f32 v[4:5], v[4:5], s[78:79], v[8:9]              // 000000005740: D3B04004 1C209D04
	v_pk_fma_f32 v[6:7], v[6:7], s[78:79], v[8:9]              // 000000005748: D3B04006 1C209D06
	v_pk_mul_f32 v[4:5], v[4:5], v[64:65]                      // 000000005750: D3B14004 18028104
	v_pk_mul_f32 v[6:7], v[6:7], v[66:67]                      // 000000005758: D3B14006 18028506
	v_pk_mul_f32 v[4:5], v[4:5], s[60:61]                      // 000000005760: D3B14004 18007904
	v_pk_mul_f32 v[6:7], v[6:7], s[60:61]                      // 000000005768: D3B14006 18007906
	v_exp_f32_e32 v4, v4                                       // 000000005770: 7E084104
	v_exp_f32_e32 v5, v5                                       // 000000005774: 7E0A4105
	v_exp_f32_e32 v6, v6                                       // 000000005778: 7E0C4106
	v_exp_f32_e32 v7, v7                                       // 00000000577C: 7E0E4107
	v_add_f32_e64 v4, v4, 1.0                                  // 000000005780: D1010004 0001E504
	v_add_f32_e64 v5, v5, 1.0                                  // 000000005788: D1010005 0001E505
	v_add_f32_e64 v6, v6, 1.0                                  // 000000005790: D1010006 0001E506
	v_add_f32_e64 v7, v7, 1.0                                  // 000000005798: D1010007 0001E507
	v_rcp_f32_e32 v4, v4                                       // 0000000057A0: 7E084504
	v_rcp_f32_e32 v5, v5                                       // 0000000057A4: 7E0A4505
	v_rcp_f32_e32 v6, v6                                       // 0000000057A8: 7E0C4506
	v_rcp_f32_e32 v7, v7                                       // 0000000057AC: 7E0E4507
	v_mul_f32_e32 v64, v64, v4                                 // 0000000057B0: 0A800940
	v_mul_f32_e32 v65, v65, v5                                 // 0000000057B4: 0A820B41
	v_mul_f32_e32 v66, v66, v6                                 // 0000000057B8: 0A840D42
	v_mul_f32_e32 v67, v67, v7                                 // 0000000057BC: 0A860F43
	v_mul_f32_e32 v64, v64, v96                                // 0000000057C0: 0A80C140
	v_mul_f32_e32 v65, v65, v97                                // 0000000057C4: 0A82C341
	v_mul_f32_e32 v66, v66, v98                                // 0000000057C8: 0A84C542
	v_mul_f32_e32 v67, v67, v99                                // 0000000057CC: 0A86C743
	v_pk_mul_f32 v[4:5], v[68:69], v[68:69]                    // 0000000057D0: D3B14004 18028944
	v_pk_mul_f32 v[6:7], v[70:71], v[70:71]                    // 0000000057D8: D3B14006 18028D46
	v_pk_fma_f32 v[4:5], v[4:5], s[78:79], v[8:9]              // 0000000057E0: D3B04004 1C209D04
	v_pk_fma_f32 v[6:7], v[6:7], s[78:79], v[8:9]              // 0000000057E8: D3B04006 1C209D06
	v_pk_mul_f32 v[4:5], v[4:5], v[68:69]                      // 0000000057F0: D3B14004 18028904
	v_pk_mul_f32 v[6:7], v[6:7], v[70:71]                      // 0000000057F8: D3B14006 18028D06
	v_pk_mul_f32 v[4:5], v[4:5], s[60:61]                      // 000000005800: D3B14004 18007904
	v_pk_mul_f32 v[6:7], v[6:7], s[60:61]                      // 000000005808: D3B14006 18007906
	v_exp_f32_e32 v4, v4                                       // 000000005810: 7E084104
	v_exp_f32_e32 v5, v5                                       // 000000005814: 7E0A4105
	v_exp_f32_e32 v6, v6                                       // 000000005818: 7E0C4106
	v_exp_f32_e32 v7, v7                                       // 00000000581C: 7E0E4107
	v_add_f32_e64 v4, v4, 1.0                                  // 000000005820: D1010004 0001E504
	v_add_f32_e64 v5, v5, 1.0                                  // 000000005828: D1010005 0001E505
	v_add_f32_e64 v6, v6, 1.0                                  // 000000005830: D1010006 0001E506
	v_add_f32_e64 v7, v7, 1.0                                  // 000000005838: D1010007 0001E507
	v_rcp_f32_e32 v4, v4                                       // 000000005840: 7E084504
	v_rcp_f32_e32 v5, v5                                       // 000000005844: 7E0A4505
	v_rcp_f32_e32 v6, v6                                       // 000000005848: 7E0C4506
	v_rcp_f32_e32 v7, v7                                       // 00000000584C: 7E0E4507
	v_mul_f32_e32 v68, v68, v4                                 // 000000005850: 0A880944
	v_mul_f32_e32 v69, v69, v5                                 // 000000005854: 0A8A0B45
	v_mul_f32_e32 v70, v70, v6                                 // 000000005858: 0A8C0D46
	v_mul_f32_e32 v71, v71, v7                                 // 00000000585C: 0A8E0F47
	v_mul_f32_e32 v68, v68, v100                               // 000000005860: 0A88C944
	v_mul_f32_e32 v69, v69, v101                               // 000000005864: 0A8ACB45
	v_mul_f32_e32 v70, v70, v102                               // 000000005868: 0A8CCD46
	v_mul_f32_e32 v71, v71, v103                               // 00000000586C: 0A8ECF47
	v_pk_mul_f32 v[4:5], v[72:73], v[72:73]                    // 000000005870: D3B14004 18029148
	v_pk_mul_f32 v[6:7], v[74:75], v[74:75]                    // 000000005878: D3B14006 1802954A
	v_pk_fma_f32 v[4:5], v[4:5], s[78:79], v[8:9]              // 000000005880: D3B04004 1C209D04
	v_pk_fma_f32 v[6:7], v[6:7], s[78:79], v[8:9]              // 000000005888: D3B04006 1C209D06
	v_pk_mul_f32 v[4:5], v[4:5], v[72:73]                      // 000000005890: D3B14004 18029104
	v_pk_mul_f32 v[6:7], v[6:7], v[74:75]                      // 000000005898: D3B14006 18029506
	v_pk_mul_f32 v[4:5], v[4:5], s[60:61]                      // 0000000058A0: D3B14004 18007904
	v_pk_mul_f32 v[6:7], v[6:7], s[60:61]                      // 0000000058A8: D3B14006 18007906
	v_exp_f32_e32 v4, v4                                       // 0000000058B0: 7E084104
	v_exp_f32_e32 v5, v5                                       // 0000000058B4: 7E0A4105
	v_exp_f32_e32 v6, v6                                       // 0000000058B8: 7E0C4106
	v_exp_f32_e32 v7, v7                                       // 0000000058BC: 7E0E4107
	v_add_f32_e64 v4, v4, 1.0                                  // 0000000058C0: D1010004 0001E504
	v_add_f32_e64 v5, v5, 1.0                                  // 0000000058C8: D1010005 0001E505
	v_add_f32_e64 v6, v6, 1.0                                  // 0000000058D0: D1010006 0001E506
	v_add_f32_e64 v7, v7, 1.0                                  // 0000000058D8: D1010007 0001E507
	v_rcp_f32_e32 v4, v4                                       // 0000000058E0: 7E084504
	v_rcp_f32_e32 v5, v5                                       // 0000000058E4: 7E0A4505
	v_rcp_f32_e32 v6, v6                                       // 0000000058E8: 7E0C4506
	v_rcp_f32_e32 v7, v7                                       // 0000000058EC: 7E0E4507
	v_mul_f32_e32 v72, v72, v4                                 // 0000000058F0: 0A900948
	v_mul_f32_e32 v73, v73, v5                                 // 0000000058F4: 0A920B49
	v_mul_f32_e32 v74, v74, v6                                 // 0000000058F8: 0A940D4A
	v_mul_f32_e32 v75, v75, v7                                 // 0000000058FC: 0A960F4B
	v_mul_f32_e32 v72, v72, v104                               // 000000005900: 0A90D148
	v_mul_f32_e32 v73, v73, v105                               // 000000005904: 0A92D349
	v_mul_f32_e32 v74, v74, v106                               // 000000005908: 0A94D54A
	v_mul_f32_e32 v75, v75, v107                               // 00000000590C: 0A96D74B
	v_pk_mul_f32 v[4:5], v[76:77], v[76:77]                    // 000000005910: D3B14004 1802994C
	v_pk_mul_f32 v[6:7], v[78:79], v[78:79]                    // 000000005918: D3B14006 18029D4E
	v_pk_fma_f32 v[4:5], v[4:5], s[78:79], v[8:9]              // 000000005920: D3B04004 1C209D04
	v_pk_fma_f32 v[6:7], v[6:7], s[78:79], v[8:9]              // 000000005928: D3B04006 1C209D06
	v_pk_mul_f32 v[4:5], v[4:5], v[76:77]                      // 000000005930: D3B14004 18029904
	v_pk_mul_f32 v[6:7], v[6:7], v[78:79]                      // 000000005938: D3B14006 18029D06
	v_pk_mul_f32 v[4:5], v[4:5], s[60:61]                      // 000000005940: D3B14004 18007904
	v_pk_mul_f32 v[6:7], v[6:7], s[60:61]                      // 000000005948: D3B14006 18007906
	v_exp_f32_e32 v4, v4                                       // 000000005950: 7E084104
	v_exp_f32_e32 v5, v5                                       // 000000005954: 7E0A4105
	v_exp_f32_e32 v6, v6                                       // 000000005958: 7E0C4106
	v_exp_f32_e32 v7, v7                                       // 00000000595C: 7E0E4107
	v_add_f32_e64 v4, v4, 1.0                                  // 000000005960: D1010004 0001E504
	v_add_f32_e64 v5, v5, 1.0                                  // 000000005968: D1010005 0001E505
	v_add_f32_e64 v6, v6, 1.0                                  // 000000005970: D1010006 0001E506
	v_add_f32_e64 v7, v7, 1.0                                  // 000000005978: D1010007 0001E507
	v_rcp_f32_e32 v4, v4                                       // 000000005980: 7E084504
	v_rcp_f32_e32 v5, v5                                       // 000000005984: 7E0A4505
	v_rcp_f32_e32 v6, v6                                       // 000000005988: 7E0C4506
	v_rcp_f32_e32 v7, v7                                       // 00000000598C: 7E0E4507
	v_mul_f32_e32 v76, v76, v4                                 // 000000005990: 0A98094C
	v_mul_f32_e32 v77, v77, v5                                 // 000000005994: 0A9A0B4D
	v_mul_f32_e32 v78, v78, v6                                 // 000000005998: 0A9C0D4E
	v_mul_f32_e32 v79, v79, v7                                 // 00000000599C: 0A9E0F4F
	v_mul_f32_e32 v76, v76, v108                               // 0000000059A0: 0A98D94C
	v_mul_f32_e32 v77, v77, v109                               // 0000000059A4: 0A9ADB4D
	v_mul_f32_e32 v78, v78, v110                               // 0000000059A8: 0A9CDD4E
	v_mul_f32_e32 v79, v79, v111                               // 0000000059AC: 0A9EDF4F
	s_branch label_0CED                                        // 0000000059B0: BF820100

00000000000059b4 <label_0BED>:
	v_mul_f32_e64 v4, -v48, s6                                 // 0000000059B4: D1050004 20000D30
	v_mul_f32_e64 v5, -v49, s6                                 // 0000000059BC: D1050005 20000D31
	v_mul_f32_e64 v6, -v50, s6                                 // 0000000059C4: D1050006 20000D32
	v_mul_f32_e64 v7, -v51, s6                                 // 0000000059CC: D1050007 20000D33
	v_exp_f32_e32 v4, v4                                       // 0000000059D4: 7E084104
	v_exp_f32_e32 v5, v5                                       // 0000000059D8: 7E0A4105
	v_exp_f32_e32 v6, v6                                       // 0000000059DC: 7E0C4106
	v_exp_f32_e32 v7, v7                                       // 0000000059E0: 7E0E4107
	v_add_f32_e64 v4, v4, 1.0                                  // 0000000059E4: D1010004 0001E504
	v_add_f32_e64 v5, v5, 1.0                                  // 0000000059EC: D1010005 0001E505
	v_add_f32_e64 v6, v6, 1.0                                  // 0000000059F4: D1010006 0001E506
	v_add_f32_e64 v7, v7, 1.0                                  // 0000000059FC: D1010007 0001E507
	v_rcp_f32_e32 v4, v4                                       // 000000005A04: 7E084504
	v_rcp_f32_e32 v5, v5                                       // 000000005A08: 7E0A4505
	v_rcp_f32_e32 v6, v6                                       // 000000005A0C: 7E0C4506
	v_rcp_f32_e32 v7, v7                                       // 000000005A10: 7E0E4507
	v_mul_f32_e32 v48, v48, v4                                 // 000000005A14: 0A600930
	v_mul_f32_e32 v49, v49, v5                                 // 000000005A18: 0A620B31
	v_mul_f32_e32 v50, v50, v6                                 // 000000005A1C: 0A640D32
	v_mul_f32_e32 v51, v51, v7                                 // 000000005A20: 0A660F33
	v_mul_f32_e32 v48, v48, v80                                // 000000005A24: 0A60A130
	v_mul_f32_e32 v49, v49, v81                                // 000000005A28: 0A62A331
	v_mul_f32_e32 v50, v50, v82                                // 000000005A2C: 0A64A532
	v_mul_f32_e32 v51, v51, v83                                // 000000005A30: 0A66A733
	v_mul_f32_e64 v4, -v52, s6                                 // 000000005A34: D1050004 20000D34
	v_mul_f32_e64 v5, -v53, s6                                 // 000000005A3C: D1050005 20000D35
	v_mul_f32_e64 v6, -v54, s6                                 // 000000005A44: D1050006 20000D36
	v_mul_f32_e64 v7, -v55, s6                                 // 000000005A4C: D1050007 20000D37
	v_exp_f32_e32 v4, v4                                       // 000000005A54: 7E084104
	v_exp_f32_e32 v5, v5                                       // 000000005A58: 7E0A4105
	v_exp_f32_e32 v6, v6                                       // 000000005A5C: 7E0C4106
	v_exp_f32_e32 v7, v7                                       // 000000005A60: 7E0E4107
	v_add_f32_e64 v4, v4, 1.0                                  // 000000005A64: D1010004 0001E504
	v_add_f32_e64 v5, v5, 1.0                                  // 000000005A6C: D1010005 0001E505
	v_add_f32_e64 v6, v6, 1.0                                  // 000000005A74: D1010006 0001E506
	v_add_f32_e64 v7, v7, 1.0                                  // 000000005A7C: D1010007 0001E507
	v_rcp_f32_e32 v4, v4                                       // 000000005A84: 7E084504
	v_rcp_f32_e32 v5, v5                                       // 000000005A88: 7E0A4505
	v_rcp_f32_e32 v6, v6                                       // 000000005A8C: 7E0C4506
	v_rcp_f32_e32 v7, v7                                       // 000000005A90: 7E0E4507
	v_mul_f32_e32 v52, v52, v4                                 // 000000005A94: 0A680934
	v_mul_f32_e32 v53, v53, v5                                 // 000000005A98: 0A6A0B35
	v_mul_f32_e32 v54, v54, v6                                 // 000000005A9C: 0A6C0D36
	v_mul_f32_e32 v55, v55, v7                                 // 000000005AA0: 0A6E0F37
	v_mul_f32_e32 v52, v52, v84                                // 000000005AA4: 0A68A934
	v_mul_f32_e32 v53, v53, v85                                // 000000005AA8: 0A6AAB35
	v_mul_f32_e32 v54, v54, v86                                // 000000005AAC: 0A6CAD36
	v_mul_f32_e32 v55, v55, v87                                // 000000005AB0: 0A6EAF37
	v_mul_f32_e64 v4, -v56, s6                                 // 000000005AB4: D1050004 20000D38
	v_mul_f32_e64 v5, -v57, s6                                 // 000000005ABC: D1050005 20000D39
	v_mul_f32_e64 v6, -v58, s6                                 // 000000005AC4: D1050006 20000D3A
	v_mul_f32_e64 v7, -v59, s6                                 // 000000005ACC: D1050007 20000D3B
	v_exp_f32_e32 v4, v4                                       // 000000005AD4: 7E084104
	v_exp_f32_e32 v5, v5                                       // 000000005AD8: 7E0A4105
	v_exp_f32_e32 v6, v6                                       // 000000005ADC: 7E0C4106
	v_exp_f32_e32 v7, v7                                       // 000000005AE0: 7E0E4107
	v_add_f32_e64 v4, v4, 1.0                                  // 000000005AE4: D1010004 0001E504
	v_add_f32_e64 v5, v5, 1.0                                  // 000000005AEC: D1010005 0001E505
	v_add_f32_e64 v6, v6, 1.0                                  // 000000005AF4: D1010006 0001E506
	v_add_f32_e64 v7, v7, 1.0                                  // 000000005AFC: D1010007 0001E507
	v_rcp_f32_e32 v4, v4                                       // 000000005B04: 7E084504
	v_rcp_f32_e32 v5, v5                                       // 000000005B08: 7E0A4505
	v_rcp_f32_e32 v6, v6                                       // 000000005B0C: 7E0C4506
	v_rcp_f32_e32 v7, v7                                       // 000000005B10: 7E0E4507
	v_mul_f32_e32 v56, v56, v4                                 // 000000005B14: 0A700938
	v_mul_f32_e32 v57, v57, v5                                 // 000000005B18: 0A720B39
	v_mul_f32_e32 v58, v58, v6                                 // 000000005B1C: 0A740D3A
	v_mul_f32_e32 v59, v59, v7                                 // 000000005B20: 0A760F3B
	v_mul_f32_e32 v56, v56, v88                                // 000000005B24: 0A70B138
	v_mul_f32_e32 v57, v57, v89                                // 000000005B28: 0A72B339
	v_mul_f32_e32 v58, v58, v90                                // 000000005B2C: 0A74B53A
	v_mul_f32_e32 v59, v59, v91                                // 000000005B30: 0A76B73B
	v_mul_f32_e64 v4, -v60, s6                                 // 000000005B34: D1050004 20000D3C
	v_mul_f32_e64 v5, -v61, s6                                 // 000000005B3C: D1050005 20000D3D
	v_mul_f32_e64 v6, -v62, s6                                 // 000000005B44: D1050006 20000D3E
	v_mul_f32_e64 v7, -v63, s6                                 // 000000005B4C: D1050007 20000D3F
	v_exp_f32_e32 v4, v4                                       // 000000005B54: 7E084104
	v_exp_f32_e32 v5, v5                                       // 000000005B58: 7E0A4105
	v_exp_f32_e32 v6, v6                                       // 000000005B5C: 7E0C4106
	v_exp_f32_e32 v7, v7                                       // 000000005B60: 7E0E4107
	v_add_f32_e64 v4, v4, 1.0                                  // 000000005B64: D1010004 0001E504
	v_add_f32_e64 v5, v5, 1.0                                  // 000000005B6C: D1010005 0001E505
	v_add_f32_e64 v6, v6, 1.0                                  // 000000005B74: D1010006 0001E506
	v_add_f32_e64 v7, v7, 1.0                                  // 000000005B7C: D1010007 0001E507
	v_rcp_f32_e32 v4, v4                                       // 000000005B84: 7E084504
	v_rcp_f32_e32 v5, v5                                       // 000000005B88: 7E0A4505
	v_rcp_f32_e32 v6, v6                                       // 000000005B8C: 7E0C4506
	v_rcp_f32_e32 v7, v7                                       // 000000005B90: 7E0E4507
	v_mul_f32_e32 v60, v60, v4                                 // 000000005B94: 0A78093C
	v_mul_f32_e32 v61, v61, v5                                 // 000000005B98: 0A7A0B3D
	v_mul_f32_e32 v62, v62, v6                                 // 000000005B9C: 0A7C0D3E
	v_mul_f32_e32 v63, v63, v7                                 // 000000005BA0: 0A7E0F3F
	v_mul_f32_e32 v60, v60, v92                                // 000000005BA4: 0A78B93C
	v_mul_f32_e32 v61, v61, v93                                // 000000005BA8: 0A7ABB3D
	v_mul_f32_e32 v62, v62, v94                                // 000000005BAC: 0A7CBD3E
	v_mul_f32_e32 v63, v63, v95                                // 000000005BB0: 0A7EBF3F
	v_mul_f32_e64 v4, -v64, s6                                 // 000000005BB4: D1050004 20000D40
	v_mul_f32_e64 v5, -v65, s6                                 // 000000005BBC: D1050005 20000D41
	v_mul_f32_e64 v6, -v66, s6                                 // 000000005BC4: D1050006 20000D42
	v_mul_f32_e64 v7, -v67, s6                                 // 000000005BCC: D1050007 20000D43
	v_exp_f32_e32 v4, v4                                       // 000000005BD4: 7E084104
	v_exp_f32_e32 v5, v5                                       // 000000005BD8: 7E0A4105
	v_exp_f32_e32 v6, v6                                       // 000000005BDC: 7E0C4106
	v_exp_f32_e32 v7, v7                                       // 000000005BE0: 7E0E4107
	v_add_f32_e64 v4, v4, 1.0                                  // 000000005BE4: D1010004 0001E504
	v_add_f32_e64 v5, v5, 1.0                                  // 000000005BEC: D1010005 0001E505
	v_add_f32_e64 v6, v6, 1.0                                  // 000000005BF4: D1010006 0001E506
	v_add_f32_e64 v7, v7, 1.0                                  // 000000005BFC: D1010007 0001E507
	v_rcp_f32_e32 v4, v4                                       // 000000005C04: 7E084504
	v_rcp_f32_e32 v5, v5                                       // 000000005C08: 7E0A4505
	v_rcp_f32_e32 v6, v6                                       // 000000005C0C: 7E0C4506
	v_rcp_f32_e32 v7, v7                                       // 000000005C10: 7E0E4507
	v_mul_f32_e32 v64, v64, v4                                 // 000000005C14: 0A800940
	v_mul_f32_e32 v65, v65, v5                                 // 000000005C18: 0A820B41
	v_mul_f32_e32 v66, v66, v6                                 // 000000005C1C: 0A840D42
	v_mul_f32_e32 v67, v67, v7                                 // 000000005C20: 0A860F43
	v_mul_f32_e32 v64, v64, v96                                // 000000005C24: 0A80C140
	v_mul_f32_e32 v65, v65, v97                                // 000000005C28: 0A82C341
	v_mul_f32_e32 v66, v66, v98                                // 000000005C2C: 0A84C542
	v_mul_f32_e32 v67, v67, v99                                // 000000005C30: 0A86C743
	v_mul_f32_e64 v4, -v68, s6                                 // 000000005C34: D1050004 20000D44
	v_mul_f32_e64 v5, -v69, s6                                 // 000000005C3C: D1050005 20000D45
	v_mul_f32_e64 v6, -v70, s6                                 // 000000005C44: D1050006 20000D46
	v_mul_f32_e64 v7, -v71, s6                                 // 000000005C4C: D1050007 20000D47
	v_exp_f32_e32 v4, v4                                       // 000000005C54: 7E084104
	v_exp_f32_e32 v5, v5                                       // 000000005C58: 7E0A4105
	v_exp_f32_e32 v6, v6                                       // 000000005C5C: 7E0C4106
	v_exp_f32_e32 v7, v7                                       // 000000005C60: 7E0E4107
	v_add_f32_e64 v4, v4, 1.0                                  // 000000005C64: D1010004 0001E504
	v_add_f32_e64 v5, v5, 1.0                                  // 000000005C6C: D1010005 0001E505
	v_add_f32_e64 v6, v6, 1.0                                  // 000000005C74: D1010006 0001E506
	v_add_f32_e64 v7, v7, 1.0                                  // 000000005C7C: D1010007 0001E507
	v_rcp_f32_e32 v4, v4                                       // 000000005C84: 7E084504
	v_rcp_f32_e32 v5, v5                                       // 000000005C88: 7E0A4505
	v_rcp_f32_e32 v6, v6                                       // 000000005C8C: 7E0C4506
	v_rcp_f32_e32 v7, v7                                       // 000000005C90: 7E0E4507
	v_mul_f32_e32 v68, v68, v4                                 // 000000005C94: 0A880944
	v_mul_f32_e32 v69, v69, v5                                 // 000000005C98: 0A8A0B45
	v_mul_f32_e32 v70, v70, v6                                 // 000000005C9C: 0A8C0D46
	v_mul_f32_e32 v71, v71, v7                                 // 000000005CA0: 0A8E0F47
	v_mul_f32_e32 v68, v68, v100                               // 000000005CA4: 0A88C944
	v_mul_f32_e32 v69, v69, v101                               // 000000005CA8: 0A8ACB45
	v_mul_f32_e32 v70, v70, v102                               // 000000005CAC: 0A8CCD46
	v_mul_f32_e32 v71, v71, v103                               // 000000005CB0: 0A8ECF47
	v_mul_f32_e64 v4, -v72, s6                                 // 000000005CB4: D1050004 20000D48
	v_mul_f32_e64 v5, -v73, s6                                 // 000000005CBC: D1050005 20000D49
	v_mul_f32_e64 v6, -v74, s6                                 // 000000005CC4: D1050006 20000D4A
	v_mul_f32_e64 v7, -v75, s6                                 // 000000005CCC: D1050007 20000D4B
	v_exp_f32_e32 v4, v4                                       // 000000005CD4: 7E084104
	v_exp_f32_e32 v5, v5                                       // 000000005CD8: 7E0A4105
	v_exp_f32_e32 v6, v6                                       // 000000005CDC: 7E0C4106
	v_exp_f32_e32 v7, v7                                       // 000000005CE0: 7E0E4107
	v_add_f32_e64 v4, v4, 1.0                                  // 000000005CE4: D1010004 0001E504
	v_add_f32_e64 v5, v5, 1.0                                  // 000000005CEC: D1010005 0001E505
	v_add_f32_e64 v6, v6, 1.0                                  // 000000005CF4: D1010006 0001E506
	v_add_f32_e64 v7, v7, 1.0                                  // 000000005CFC: D1010007 0001E507
	v_rcp_f32_e32 v4, v4                                       // 000000005D04: 7E084504
	v_rcp_f32_e32 v5, v5                                       // 000000005D08: 7E0A4505
	v_rcp_f32_e32 v6, v6                                       // 000000005D0C: 7E0C4506
	v_rcp_f32_e32 v7, v7                                       // 000000005D10: 7E0E4507
	v_mul_f32_e32 v72, v72, v4                                 // 000000005D14: 0A900948
	v_mul_f32_e32 v73, v73, v5                                 // 000000005D18: 0A920B49
	v_mul_f32_e32 v74, v74, v6                                 // 000000005D1C: 0A940D4A
	v_mul_f32_e32 v75, v75, v7                                 // 000000005D20: 0A960F4B
	v_mul_f32_e32 v72, v72, v104                               // 000000005D24: 0A90D148
	v_mul_f32_e32 v73, v73, v105                               // 000000005D28: 0A92D349
	v_mul_f32_e32 v74, v74, v106                               // 000000005D2C: 0A94D54A
	v_mul_f32_e32 v75, v75, v107                               // 000000005D30: 0A96D74B
	v_mul_f32_e64 v4, -v76, s6                                 // 000000005D34: D1050004 20000D4C
	v_mul_f32_e64 v5, -v77, s6                                 // 000000005D3C: D1050005 20000D4D
	v_mul_f32_e64 v6, -v78, s6                                 // 000000005D44: D1050006 20000D4E
	v_mul_f32_e64 v7, -v79, s6                                 // 000000005D4C: D1050007 20000D4F
	v_exp_f32_e32 v4, v4                                       // 000000005D54: 7E084104
	v_exp_f32_e32 v5, v5                                       // 000000005D58: 7E0A4105
	v_exp_f32_e32 v6, v6                                       // 000000005D5C: 7E0C4106
	v_exp_f32_e32 v7, v7                                       // 000000005D60: 7E0E4107
	v_add_f32_e64 v4, v4, 1.0                                  // 000000005D64: D1010004 0001E504
	v_add_f32_e64 v5, v5, 1.0                                  // 000000005D6C: D1010005 0001E505
	v_add_f32_e64 v6, v6, 1.0                                  // 000000005D74: D1010006 0001E506
	v_add_f32_e64 v7, v7, 1.0                                  // 000000005D7C: D1010007 0001E507
	v_rcp_f32_e32 v4, v4                                       // 000000005D84: 7E084504
	v_rcp_f32_e32 v5, v5                                       // 000000005D88: 7E0A4505
	v_rcp_f32_e32 v6, v6                                       // 000000005D8C: 7E0C4506
	v_rcp_f32_e32 v7, v7                                       // 000000005D90: 7E0E4507
	v_mul_f32_e32 v76, v76, v4                                 // 000000005D94: 0A98094C
	v_mul_f32_e32 v77, v77, v5                                 // 000000005D98: 0A9A0B4D
	v_mul_f32_e32 v78, v78, v6                                 // 000000005D9C: 0A9C0D4E
	v_mul_f32_e32 v79, v79, v7                                 // 000000005DA0: 0A9E0F4F
	v_mul_f32_e32 v76, v76, v108                               // 000000005DA4: 0A98D94C
	v_mul_f32_e32 v77, v77, v109                               // 000000005DA8: 0A9ADB4D
	v_mul_f32_e32 v78, v78, v110                               // 000000005DAC: 0A9CDD4E
	v_mul_f32_e32 v79, v79, v111                               // 000000005DB0: 0A9EDF4F

0000000000005db4 <label_0CED>:
	s_cmp_eq_u32 s7, 0                                         // 000000005DB4: BF068007
	s_cbranch_scc0 label_0CF7                                  // 000000005DB8: BF840008
	v_and_b32_e32 v4, 15, v0                                   // 000000005DBC: 2608008F
	v_lshlrev_b32_e32 v4, 2, v4                                // 000000005DC0: 24080882
	buffer_load_dword v30, v4, s[12:15], 0 offen               // 000000005DC4: E0501000 80031E04
	v_add_u32_e32 v4, 64, v4                                   // 000000005DCC: 680808C0
	buffer_load_dword v31, v4, s[12:15], 0 offen               // 000000005DD0: E0501000 80031F04
	v_add_u32_e32 v4, 64, v4                                   // 000000005DD8: 680808C0

0000000000005ddc <label_0CF7>:
	v_lshlrev_b32_e32 v4, 2, v0                                // 000000005DDC: 24080082
	s_mul_i32 s60, 0x100, s7                                   // 000000005DE0: 923C07FF 00000100
	v_add_u32_e32 v84, s60, v4                                 // 000000005DE8: 68A8083C
	v_and_b32_e32 v4, 15, v0                                   // 000000005DEC: 2608008F
	v_lshlrev_b32_e32 v85, 2, v4                               // 000000005DF0: 24AA0882
	s_waitcnt lgkmcnt(0)                                       // 000000005DF4: BF8CC07F
	s_barrier                                                  // 000000005DF8: BF8A0000
	v_mov_b32_e32 v80, 0x358637bd                              // 000000005DFC: 7EA002FF 358637BD
	v_max3_f32 v80, |v48|, |v49|, v80                          // 000000005E04: D1D30350 05426330
	v_max3_f32 v80, |v50|, |v51|, v80                          // 000000005E0C: D1D30350 05426732
	v_max3_f32 v80, |v56|, |v57|, v80                          // 000000005E14: D1D30350 05427338
	v_max3_f32 v80, |v58|, |v59|, v80                          // 000000005E1C: D1D30350 0542773A
	ds_write_b32 v84, v80                                      // 000000005E24: D81A0000 00005054
	s_waitcnt lgkmcnt(0)                                       // 000000005E2C: BF8CC07F
	s_barrier                                                  // 000000005E30: BF8A0000
	ds_read_b32 v4, v85                                        // 000000005E34: D86C0000 04000055
	ds_read_b32 v5, v85 offset:64                              // 000000005E3C: D86C0040 05000055
	ds_read_b32 v6, v85 offset:128                             // 000000005E44: D86C0080 06000055
	ds_read_b32 v7, v85 offset:192                             // 000000005E4C: D86C00C0 07000055
	ds_read_b32 v8, v85 offset:256                             // 000000005E54: D86C0100 08000055
	ds_read_b32 v9, v85 offset:320                             // 000000005E5C: D86C0140 09000055
	ds_read_b32 v10, v85 offset:384                            // 000000005E64: D86C0180 0A000055
	ds_read_b32 v11, v85 offset:448                            // 000000005E6C: D86C01C0 0B000055
	ds_read_b32 v12, v85 offset:512                            // 000000005E74: D86C0200 0C000055
	ds_read_b32 v13, v85 offset:576                            // 000000005E7C: D86C0240 0D000055
	ds_read_b32 v14, v85 offset:640                            // 000000005E84: D86C0280 0E000055
	ds_read_b32 v15, v85 offset:704                            // 000000005E8C: D86C02C0 0F000055
	ds_read_b32 v16, v85 offset:768                            // 000000005E94: D86C0300 10000055
	ds_read_b32 v17, v85 offset:832                            // 000000005E9C: D86C0340 11000055
	ds_read_b32 v18, v85 offset:896                            // 000000005EA4: D86C0380 12000055
	ds_read_b32 v19, v85 offset:960                            // 000000005EAC: D86C03C0 13000055
	s_waitcnt lgkmcnt(0)                                       // 000000005EB4: BF8CC07F
	s_barrier                                                  // 000000005EB8: BF8A0000
	v_max3_f32 v80, |v4|, |v5|, v80                            // 000000005EBC: D1D30350 05420B04
	v_max3_f32 v80, |v6|, |v7|, v80                            // 000000005EC4: D1D30350 05420F06
	v_max3_f32 v80, |v8|, |v9|, v80                            // 000000005ECC: D1D30350 05421308
	v_max3_f32 v80, |v10|, |v11|, v80                          // 000000005ED4: D1D30350 0542170A
	v_max3_f32 v80, |v12|, |v13|, v80                          // 000000005EDC: D1D30350 05421B0C
	v_max3_f32 v80, |v14|, |v15|, v80                          // 000000005EE4: D1D30350 05421F0E
	v_max3_f32 v80, |v16|, |v17|, v80                          // 000000005EEC: D1D30350 05422310
	v_max3_f32 v80, |v18|, |v19|, v80                          // 000000005EF4: D1D30350 05422712
	v_rcp_f32_e32 v80, v80                                     // 000000005EFC: 7EA04550
	v_mov_b32_e32 v4, 0x43700000                               // 000000005F00: 7E0802FF 43700000
	v_mul_f32_e32 v80, v4, v80                                 // 000000005F08: 0AA0A104
	v_mov_b32_e32 v4, v80                                      // 000000005F0C: 7E080350
	v_mov_b32_e32 v5, v4                                       // 000000005F10: 7E0A0304
	v_pk_mul_f32 v[48:49], v[4:5], v[48:49]                    // 000000005F14: D3B14030 18026104
	v_pk_mul_f32 v[50:51], v[4:5], v[50:51]                    // 000000005F1C: D3B14032 18026504
	v_cvt_pk_fp8_f32 v48, v48, v49                             // 000000005F24: D2A20030 00026330
	v_cvt_pk_fp8_f32 v48, v50, v51 op_sel:[0,0,1]              // 000000005F2C: D2A24030 00026732
	v_pk_mul_f32 v[56:57], v[4:5], v[56:57]                    // 000000005F34: D3B14038 18027104
	v_pk_mul_f32 v[58:59], v[4:5], v[58:59]                    // 000000005F3C: D3B1403A 18027504
	v_cvt_pk_fp8_f32 v56, v56, v57                             // 000000005F44: D2A20038 00027338
	v_cvt_pk_fp8_f32 v56, v58, v59 op_sel:[0,0,1]              // 000000005F4C: D2A24038 0002773A
	v_rcp_f32_e32 v80, v80                                     // 000000005F54: 7EA04550
	v_mov_b32_e32 v82, 0x358637bd                              // 000000005F58: 7EA402FF 358637BD
	v_max3_f32 v82, |v64|, |v65|, v82                          // 000000005F60: D1D30352 054A8340
	v_max3_f32 v82, |v66|, |v67|, v82                          // 000000005F68: D1D30352 054A8742
	v_max3_f32 v82, |v72|, |v73|, v82                          // 000000005F70: D1D30352 054A9348
	v_max3_f32 v82, |v74|, |v75|, v82                          // 000000005F78: D1D30352 054A974A
	ds_write_b32 v84, v82                                      // 000000005F80: D81A0000 00005254
	s_waitcnt lgkmcnt(0)                                       // 000000005F88: BF8CC07F
	s_barrier                                                  // 000000005F8C: BF8A0000
	ds_read_b32 v4, v85                                        // 000000005F90: D86C0000 04000055
	ds_read_b32 v5, v85 offset:64                              // 000000005F98: D86C0040 05000055
	ds_read_b32 v6, v85 offset:128                             // 000000005FA0: D86C0080 06000055
	ds_read_b32 v7, v85 offset:192                             // 000000005FA8: D86C00C0 07000055
	ds_read_b32 v8, v85 offset:256                             // 000000005FB0: D86C0100 08000055
	ds_read_b32 v9, v85 offset:320                             // 000000005FB8: D86C0140 09000055
	ds_read_b32 v10, v85 offset:384                            // 000000005FC0: D86C0180 0A000055
	ds_read_b32 v11, v85 offset:448                            // 000000005FC8: D86C01C0 0B000055
	ds_read_b32 v12, v85 offset:512                            // 000000005FD0: D86C0200 0C000055
	ds_read_b32 v13, v85 offset:576                            // 000000005FD8: D86C0240 0D000055
	ds_read_b32 v14, v85 offset:640                            // 000000005FE0: D86C0280 0E000055
	ds_read_b32 v15, v85 offset:704                            // 000000005FE8: D86C02C0 0F000055
	ds_read_b32 v16, v85 offset:768                            // 000000005FF0: D86C0300 10000055
	ds_read_b32 v17, v85 offset:832                            // 000000005FF8: D86C0340 11000055
	ds_read_b32 v18, v85 offset:896                            // 000000006000: D86C0380 12000055
	ds_read_b32 v19, v85 offset:960                            // 000000006008: D86C03C0 13000055
	s_waitcnt lgkmcnt(0)                                       // 000000006010: BF8CC07F
	s_barrier                                                  // 000000006014: BF8A0000
	v_max3_f32 v82, |v4|, |v5|, v82                            // 000000006018: D1D30352 054A0B04
	v_max3_f32 v82, |v6|, |v7|, v82                            // 000000006020: D1D30352 054A0F06
	v_max3_f32 v82, |v8|, |v9|, v82                            // 000000006028: D1D30352 054A1308
	v_max3_f32 v82, |v10|, |v11|, v82                          // 000000006030: D1D30352 054A170A
	v_max3_f32 v82, |v12|, |v13|, v82                          // 000000006038: D1D30352 054A1B0C
	v_max3_f32 v82, |v14|, |v15|, v82                          // 000000006040: D1D30352 054A1F0E
	v_max3_f32 v82, |v16|, |v17|, v82                          // 000000006048: D1D30352 054A2310
	v_max3_f32 v82, |v18|, |v19|, v82                          // 000000006050: D1D30352 054A2712
	v_rcp_f32_e32 v82, v82                                     // 000000006058: 7EA44552
	v_mov_b32_e32 v4, 0x43700000                               // 00000000605C: 7E0802FF 43700000
	v_mul_f32_e32 v82, v4, v82                                 // 000000006064: 0AA4A504
	v_mov_b32_e32 v4, v82                                      // 000000006068: 7E080352
	v_mov_b32_e32 v5, v4                                       // 00000000606C: 7E0A0304
	v_pk_mul_f32 v[64:65], v[4:5], v[64:65]                    // 000000006070: D3B14040 18028104
	v_pk_mul_f32 v[66:67], v[4:5], v[66:67]                    // 000000006078: D3B14042 18028504
	v_cvt_pk_fp8_f32 v64, v64, v65                             // 000000006080: D2A20040 00028340
	v_cvt_pk_fp8_f32 v64, v66, v67 op_sel:[0,0,1]              // 000000006088: D2A24040 00028742
	v_pk_mul_f32 v[72:73], v[4:5], v[72:73]                    // 000000006090: D3B14048 18029104
	v_pk_mul_f32 v[74:75], v[4:5], v[74:75]                    // 000000006098: D3B1404A 18029504
	v_cvt_pk_fp8_f32 v72, v72, v73                             // 0000000060A0: D2A20048 00029348
	v_cvt_pk_fp8_f32 v72, v74, v75 op_sel:[0,0,1]              // 0000000060A8: D2A24048 0002974A
	v_rcp_f32_e32 v82, v82                                     // 0000000060B0: 7EA44552
	v_mov_b32_e32 v81, 0x358637bd                              // 0000000060B4: 7EA202FF 358637BD
	v_max3_f32 v81, |v52|, |v53|, v81                          // 0000000060BC: D1D30351 05466B34
	v_max3_f32 v81, |v54|, |v55|, v81                          // 0000000060C4: D1D30351 05466F36
	v_max3_f32 v81, |v60|, |v61|, v81                          // 0000000060CC: D1D30351 05467B3C
	v_max3_f32 v81, |v62|, |v63|, v81                          // 0000000060D4: D1D30351 05467F3E
	ds_write_b32 v84, v81                                      // 0000000060DC: D81A0000 00005154
	s_waitcnt lgkmcnt(0)                                       // 0000000060E4: BF8CC07F
	s_barrier                                                  // 0000000060E8: BF8A0000
	ds_read_b32 v4, v85                                        // 0000000060EC: D86C0000 04000055
	ds_read_b32 v5, v85 offset:64                              // 0000000060F4: D86C0040 05000055
	ds_read_b32 v6, v85 offset:128                             // 0000000060FC: D86C0080 06000055
	ds_read_b32 v7, v85 offset:192                             // 000000006104: D86C00C0 07000055
	ds_read_b32 v8, v85 offset:256                             // 00000000610C: D86C0100 08000055
	ds_read_b32 v9, v85 offset:320                             // 000000006114: D86C0140 09000055
	ds_read_b32 v10, v85 offset:384                            // 00000000611C: D86C0180 0A000055
	ds_read_b32 v11, v85 offset:448                            // 000000006124: D86C01C0 0B000055
	ds_read_b32 v12, v85 offset:512                            // 00000000612C: D86C0200 0C000055
	ds_read_b32 v13, v85 offset:576                            // 000000006134: D86C0240 0D000055
	ds_read_b32 v14, v85 offset:640                            // 00000000613C: D86C0280 0E000055
	ds_read_b32 v15, v85 offset:704                            // 000000006144: D86C02C0 0F000055
	ds_read_b32 v16, v85 offset:768                            // 00000000614C: D86C0300 10000055
	ds_read_b32 v17, v85 offset:832                            // 000000006154: D86C0340 11000055
	ds_read_b32 v18, v85 offset:896                            // 00000000615C: D86C0380 12000055
	ds_read_b32 v19, v85 offset:960                            // 000000006164: D86C03C0 13000055
	s_waitcnt lgkmcnt(0)                                       // 00000000616C: BF8CC07F
	s_barrier                                                  // 000000006170: BF8A0000
	v_max3_f32 v81, |v4|, |v5|, v81                            // 000000006174: D1D30351 05460B04
	v_max3_f32 v81, |v6|, |v7|, v81                            // 00000000617C: D1D30351 05460F06
	v_max3_f32 v81, |v8|, |v9|, v81                            // 000000006184: D1D30351 05461308
	v_max3_f32 v81, |v10|, |v11|, v81                          // 00000000618C: D1D30351 0546170A
	v_max3_f32 v81, |v12|, |v13|, v81                          // 000000006194: D1D30351 05461B0C
	v_max3_f32 v81, |v14|, |v15|, v81                          // 00000000619C: D1D30351 05461F0E
	v_max3_f32 v81, |v16|, |v17|, v81                          // 0000000061A4: D1D30351 05462310
	v_max3_f32 v81, |v18|, |v19|, v81                          // 0000000061AC: D1D30351 05462712
	v_rcp_f32_e32 v81, v81                                     // 0000000061B4: 7EA24551
	v_mov_b32_e32 v4, 0x43700000                               // 0000000061B8: 7E0802FF 43700000
	v_mul_f32_e32 v81, v4, v81                                 // 0000000061C0: 0AA2A304
	v_mov_b32_e32 v4, v81                                      // 0000000061C4: 7E080351
	v_mov_b32_e32 v5, v4                                       // 0000000061C8: 7E0A0304
	v_pk_mul_f32 v[52:53], v[4:5], v[52:53]                    // 0000000061CC: D3B14034 18026904
	v_pk_mul_f32 v[54:55], v[4:5], v[54:55]                    // 0000000061D4: D3B14036 18026D04
	v_cvt_pk_fp8_f32 v52, v52, v53                             // 0000000061DC: D2A20034 00026B34
	v_cvt_pk_fp8_f32 v52, v54, v55 op_sel:[0,0,1]              // 0000000061E4: D2A24034 00026F36
	v_pk_mul_f32 v[60:61], v[4:5], v[60:61]                    // 0000000061EC: D3B1403C 18027904
	v_pk_mul_f32 v[62:63], v[4:5], v[62:63]                    // 0000000061F4: D3B1403E 18027D04
	v_cvt_pk_fp8_f32 v60, v60, v61                             // 0000000061FC: D2A2003C 00027B3C
	v_cvt_pk_fp8_f32 v60, v62, v63 op_sel:[0,0,1]              // 000000006204: D2A2403C 00027F3E
	v_rcp_f32_e32 v81, v81                                     // 00000000620C: 7EA24551
	v_mov_b32_e32 v83, 0x358637bd                              // 000000006210: 7EA602FF 358637BD
	v_max3_f32 v83, |v68|, |v69|, v83                          // 000000006218: D1D30353 054E8B44
	v_max3_f32 v83, |v70|, |v71|, v83                          // 000000006220: D1D30353 054E8F46
	v_max3_f32 v83, |v76|, |v77|, v83                          // 000000006228: D1D30353 054E9B4C
	v_max3_f32 v83, |v78|, |v79|, v83                          // 000000006230: D1D30353 054E9F4E
	ds_write_b32 v84, v83                                      // 000000006238: D81A0000 00005354
	s_waitcnt lgkmcnt(0)                                       // 000000006240: BF8CC07F
	s_barrier                                                  // 000000006244: BF8A0000
	ds_read_b32 v4, v85                                        // 000000006248: D86C0000 04000055
	ds_read_b32 v5, v85 offset:64                              // 000000006250: D86C0040 05000055
	ds_read_b32 v6, v85 offset:128                             // 000000006258: D86C0080 06000055
	ds_read_b32 v7, v85 offset:192                             // 000000006260: D86C00C0 07000055
	ds_read_b32 v8, v85 offset:256                             // 000000006268: D86C0100 08000055
	ds_read_b32 v9, v85 offset:320                             // 000000006270: D86C0140 09000055
	ds_read_b32 v10, v85 offset:384                            // 000000006278: D86C0180 0A000055
	ds_read_b32 v11, v85 offset:448                            // 000000006280: D86C01C0 0B000055
	ds_read_b32 v12, v85 offset:512                            // 000000006288: D86C0200 0C000055
	ds_read_b32 v13, v85 offset:576                            // 000000006290: D86C0240 0D000055
	ds_read_b32 v14, v85 offset:640                            // 000000006298: D86C0280 0E000055
	ds_read_b32 v15, v85 offset:704                            // 0000000062A0: D86C02C0 0F000055
	ds_read_b32 v16, v85 offset:768                            // 0000000062A8: D86C0300 10000055
	ds_read_b32 v17, v85 offset:832                            // 0000000062B0: D86C0340 11000055
	ds_read_b32 v18, v85 offset:896                            // 0000000062B8: D86C0380 12000055
	ds_read_b32 v19, v85 offset:960                            // 0000000062C0: D86C03C0 13000055
	s_waitcnt lgkmcnt(0)                                       // 0000000062C8: BF8CC07F
	s_barrier                                                  // 0000000062CC: BF8A0000
	v_max3_f32 v83, |v4|, |v5|, v83                            // 0000000062D0: D1D30353 054E0B04
	v_max3_f32 v83, |v6|, |v7|, v83                            // 0000000062D8: D1D30353 054E0F06
	v_max3_f32 v83, |v8|, |v9|, v83                            // 0000000062E0: D1D30353 054E1308
	v_max3_f32 v83, |v10|, |v11|, v83                          // 0000000062E8: D1D30353 054E170A
	v_max3_f32 v83, |v12|, |v13|, v83                          // 0000000062F0: D1D30353 054E1B0C
	v_max3_f32 v83, |v14|, |v15|, v83                          // 0000000062F8: D1D30353 054E1F0E
	v_max3_f32 v83, |v16|, |v17|, v83                          // 000000006300: D1D30353 054E2310
	v_max3_f32 v83, |v18|, |v19|, v83                          // 000000006308: D1D30353 054E2712
	v_rcp_f32_e32 v83, v83                                     // 000000006310: 7EA64553
	v_mov_b32_e32 v4, 0x43700000                               // 000000006314: 7E0802FF 43700000
	v_mul_f32_e32 v83, v4, v83                                 // 00000000631C: 0AA6A704
	v_mov_b32_e32 v4, v83                                      // 000000006320: 7E080353
	v_mov_b32_e32 v5, v4                                       // 000000006324: 7E0A0304
	v_pk_mul_f32 v[68:69], v[4:5], v[68:69]                    // 000000006328: D3B14044 18028904
	v_pk_mul_f32 v[70:71], v[4:5], v[70:71]                    // 000000006330: D3B14046 18028D04
	v_cvt_pk_fp8_f32 v68, v68, v69                             // 000000006338: D2A20044 00028B44
	v_cvt_pk_fp8_f32 v68, v70, v71 op_sel:[0,0,1]              // 000000006340: D2A24044 00028F46
	v_pk_mul_f32 v[76:77], v[4:5], v[76:77]                    // 000000006348: D3B1404C 18029904
	v_pk_mul_f32 v[78:79], v[4:5], v[78:79]                    // 000000006350: D3B1404E 18029D04
	v_cvt_pk_fp8_f32 v76, v76, v77                             // 000000006358: D2A2004C 00029B4C
	v_cvt_pk_fp8_f32 v76, v78, v79 op_sel:[0,0,1]              // 000000006360: D2A2404C 00029F4E
	v_rcp_f32_e32 v83, v83                                     // 000000006368: 7EA64553
	v_lshrrev_b32_e32 v4, 5, v0                                // 00000000636C: 20080085
	v_mul_lo_u32 v20, 34, v4                                   // 000000006370: D2850014 000208A2
	v_and_b32_e32 v4, 31, v0                                   // 000000006378: 2608009F
	v_lshrrev_b32_e32 v5, 4, v4                                // 00000000637C: 200A0884
	v_add_u32_e32 v20, v5, v20                                 // 000000006380: 68282905
	v_and_b32_e32 v4, 15, v0                                   // 000000006384: 2608008F
	v_mul_lo_u32 v5, 2, v4                                     // 000000006388: D2850005 00020882
	v_add_u32_e32 v20, v5, v20                                 // 000000006390: 68282905
	s_mul_i32 s60, s7, 0x44                                    // 000000006394: 923CFF07 00000044
	v_add_u32_e32 v20, s60, v20                                // 00000000639C: 6828283C
	v_lshlrev_b32_e32 v20, 2, v20                              // 0000000063A0: 24282882
	ds_write_b32 v20, v48                                      // 0000000063A4: D81A0000 00003014
	ds_write_b32 v20, v52 offset:4352                          // 0000000063AC: D81A1100 00003414
	ds_write_b32 v20, v56 offset:1088                          // 0000000063B4: D81A0440 00003814
	ds_write_b32 v20, v60 offset:5440                          // 0000000063BC: D81A1540 00003C14
	ds_write_b32 v20, v64 offset:2176                          // 0000000063C4: D81A0880 00004014
	ds_write_b32 v20, v68 offset:6528                          // 0000000063CC: D81A1980 00004414
	ds_write_b32 v20, v72 offset:3264                          // 0000000063D4: D81A0CC0 00004814
	ds_write_b32 v20, v76 offset:7616                          // 0000000063DC: D81A1DC0 00004C14
	v_lshrrev_b32_e32 v4, 5, v0                                // 0000000063E4: 20080085
	v_xor_b32_e32 v5, 1, v4                                    // 0000000063E8: 2A0A0881
	s_mul_i32 s60, s65, 1                                      // 0000000063EC: 923C8141
	s_cmp_eq_u32 s88, 0                                        // 0000000063F0: BF068058
	s_cselect_b32 s61, 1, 8                                    // 0000000063F4: 853D8881
	s_mul_i32 s60, s61, s60                                    // 0000000063F8: 923C3C3D
	v_readlane_b32 s82, v3, 0                                  // 0000000063FC: D2890052 00010103
	s_lshr_b32 s61, s82, 24                                    // 000000006404: 8F3D9852
	s_and_b32 s82, s82, 0xffffff                               // 000000006408: 8652FF52 00FFFFFF
	s_mul_i32 s82, s82, s71                                    // 000000006410: 92524752
	s_mul_i32 s61, s60, s61                                    // 000000006414: 923D3D3C
	s_add_u32 s82, s82, s61                                    // 000000006418: 80523D52
	v_mul_lo_u32 v6, v5, s82                                   // 00000000641C: D2850006 0000A505
	v_readlane_b32 s82, v3, 1                                  // 000000006424: D2890052 00010303
	s_lshr_b32 s61, s82, 24                                    // 00000000642C: 8F3D9852
	s_and_b32 s82, s82, 0xffffff                               // 000000006430: 8652FF52 00FFFFFF
	s_mul_i32 s82, s82, s71                                    // 000000006438: 92524752
	s_mul_i32 s61, s60, s61                                    // 00000000643C: 923D3D3C
	s_add_u32 s82, s82, s61                                    // 000000006440: 80523D52
	v_mul_lo_u32 v7, v4, s82                                   // 000000006444: D2850007 0000A504
	v_add_u32_e32 v38, v6, v7                                  // 00000000644C: 684C0F06
	v_readlane_b32 s82, v3, 2                                  // 000000006450: D2890052 00010503
	s_lshr_b32 s61, s82, 24                                    // 000000006458: 8F3D9852
	s_and_b32 s82, s82, 0xffffff                               // 00000000645C: 8652FF52 00FFFFFF
	s_mul_i32 s82, s82, s71                                    // 000000006464: 92524752
	s_mul_i32 s61, s60, s61                                    // 000000006468: 923D3D3C
	s_add_u32 s82, s82, s61                                    // 00000000646C: 80523D52
	v_mul_lo_u32 v6, v5, s82                                   // 000000006470: D2850006 0000A505
	v_readlane_b32 s82, v3, 3                                  // 000000006478: D2890052 00010703
	s_lshr_b32 s61, s82, 24                                    // 000000006480: 8F3D9852
	s_and_b32 s82, s82, 0xffffff                               // 000000006484: 8652FF52 00FFFFFF
	s_mul_i32 s82, s82, s71                                    // 00000000648C: 92524752
	s_mul_i32 s61, s60, s61                                    // 000000006490: 923D3D3C
	s_add_u32 s82, s82, s61                                    // 000000006494: 80523D52
	v_mul_lo_u32 v7, v4, s82                                   // 000000006498: D2850007 0000A504
	v_add_u32_e32 v39, v6, v7                                  // 0000000064A0: 684E0F06
	v_readlane_b32 s82, v3, 4                                  // 0000000064A4: D2890052 00010903
	s_lshr_b32 s61, s82, 24                                    // 0000000064AC: 8F3D9852
	s_and_b32 s82, s82, 0xffffff                               // 0000000064B0: 8652FF52 00FFFFFF
	s_mul_i32 s82, s82, s71                                    // 0000000064B8: 92524752
	s_mul_i32 s61, s60, s61                                    // 0000000064BC: 923D3D3C
	s_add_u32 s82, s82, s61                                    // 0000000064C0: 80523D52
	v_mul_lo_u32 v6, v5, s82                                   // 0000000064C4: D2850006 0000A505
	v_readlane_b32 s82, v3, 5                                  // 0000000064CC: D2890052 00010B03
	s_lshr_b32 s61, s82, 24                                    // 0000000064D4: 8F3D9852
	s_and_b32 s82, s82, 0xffffff                               // 0000000064D8: 8652FF52 00FFFFFF
	s_mul_i32 s82, s82, s71                                    // 0000000064E0: 92524752
	s_mul_i32 s61, s60, s61                                    // 0000000064E4: 923D3D3C
	s_add_u32 s82, s82, s61                                    // 0000000064E8: 80523D52
	v_mul_lo_u32 v7, v4, s82                                   // 0000000064EC: D2850007 0000A504
	v_add_u32_e32 v40, v6, v7                                  // 0000000064F4: 68500F06
	v_readlane_b32 s82, v3, 6                                  // 0000000064F8: D2890052 00010D03
	s_lshr_b32 s61, s82, 24                                    // 000000006500: 8F3D9852
	s_and_b32 s82, s82, 0xffffff                               // 000000006504: 8652FF52 00FFFFFF
	s_mul_i32 s82, s82, s71                                    // 00000000650C: 92524752
	s_mul_i32 s61, s60, s61                                    // 000000006510: 923D3D3C
	s_add_u32 s82, s82, s61                                    // 000000006514: 80523D52
	v_mul_lo_u32 v6, v5, s82                                   // 000000006518: D2850006 0000A505
	v_readlane_b32 s82, v3, 7                                  // 000000006520: D2890052 00010F03
	s_lshr_b32 s61, s82, 24                                    // 000000006528: 8F3D9852
	s_and_b32 s82, s82, 0xffffff                               // 00000000652C: 8652FF52 00FFFFFF
	s_mul_i32 s82, s82, s71                                    // 000000006534: 92524752
	s_mul_i32 s61, s60, s61                                    // 000000006538: 923D3D3C
	s_add_u32 s82, s82, s61                                    // 00000000653C: 80523D52
	v_mul_lo_u32 v7, v4, s82                                   // 000000006540: D2850007 0000A504
	v_add_u32_e32 v41, v6, v7                                  // 000000006548: 68520F06
	v_and_b32_e32 v4, 31, v0                                   // 00000000654C: 2608009F
	v_lshrrev_b32_e32 v4, 1, v4                                // 000000006550: 20080881
	s_cmp_eq_u32 s88, 0                                        // 000000006554: BF068058
	s_cselect_b32 s61, 2, 4                                    // 000000006558: 853D8482
	v_mul_lo_u32 v4, v4, s61                                   // 00000000655C: D2850004 00007B04
	v_and_b32_e64 v5, v0, 1                                    // 000000006564: D1130005 00010300
	v_add_u32_e32 v4, v4, v5                                   // 00000000656C: 68080B04
	v_lshlrev_b32_e32 v4, 2, v4                                // 000000006570: 24080882
	v_add_u32_e32 v38, v38, v4                                 // 000000006574: 684C0926
	v_add_u32_e32 v39, v39, v4                                 // 000000006578: 684E0927
	v_add_u32_e32 v40, v40, v4                                 // 00000000657C: 68500928
	v_add_u32_e32 v41, v41, v4                                 // 000000006580: 68520929
	s_waitcnt lgkmcnt(0)                                       // 000000006584: BF8CC07F
	s_barrier                                                  // 000000006588: BF8A0000
	ds_read_b32 v48, v21                                       // 00000000658C: D86C0000 30000015
	ds_read_b32 v49, v21 offset:64                             // 000000006594: D86C0040 31000015
	ds_read_b32 v50, v21 offset:2176                           // 00000000659C: D86C0880 32000015
	ds_read_b32 v51, v21 offset:2240                           // 0000000065A4: D86C08C0 33000015
	ds_read_b32 v52, v21 offset:4352                           // 0000000065AC: D86C1100 34000015
	ds_read_b32 v53, v21 offset:4416                           // 0000000065B4: D86C1140 35000015
	ds_read_b32 v54, v21 offset:6528                           // 0000000065BC: D86C1980 36000015
	ds_read_b32 v55, v21 offset:6592                           // 0000000065C4: D86C19C0 37000015
	s_waitcnt lgkmcnt(0)                                       // 0000000065CC: BF8CC07F
	s_mov_b32 s36, -1                                          // 0000000065D0: BEA400C1
	s_mov_b32 s37, -1                                          // 0000000065D4: BEA500C1
	v_mov_b32_e32 v7, 0                                        // 0000000065D8: 7E0E0280
	s_or_b32 s9, s9, 0x40000                                   // 0000000065DC: 8709FF09 00040000
	s_mov_b64 exec, s[36:37]                                   // 0000000065E4: BEFE0124
	v_mov_b32_e32 v6, v38                                      // 0000000065E8: 7E0C0326
	s_mov_b64 s[60:61], 0                                      // 0000000065EC: BEBC0180
	v_readlane_b32 s82, v3, 0                                  // 0000000065F0: D2890052 00010103
	s_and_b32 s82, s82, 0xffffff                               // 0000000065F8: 8652FF52 00FFFFFF
	s_cmp_lt_u32 s82, s66                                      // 000000006600: BF0A4252
	s_cselect_b32 s20, s36, s60                                // 000000006604: 85143C24
	v_readlane_b32 s82, v3, 1                                  // 000000006608: D2890052 00010303
	s_and_b32 s82, s82, 0xffffff                               // 000000006610: 8652FF52 00FFFFFF
	s_cmp_lt_u32 s82, s66                                      // 000000006618: BF0A4252
	s_cselect_b32 s21, s36, s60                                // 00000000661C: 85153C24
	s_mov_b64 exec, s[20:21]                                   // 000000006620: BEFE0114
	buffer_store_dword v48, v6, s[8:11], 0 offen               // 000000006624: E0701000 80023006
	buffer_store_dword v50, v6, s[8:11], 0 offen offset:128    // 00000000662C: E0701080 80023206
	s_mov_b64 exec, s[36:37]                                   // 000000006634: BEFE0124
	v_mov_b32_e32 v6, v39                                      // 000000006638: 7E0C0327
	s_mov_b64 s[60:61], 0                                      // 00000000663C: BEBC0180
	v_readlane_b32 s82, v3, 2                                  // 000000006640: D2890052 00010503
	s_and_b32 s82, s82, 0xffffff                               // 000000006648: 8652FF52 00FFFFFF
	s_cmp_lt_u32 s82, s66                                      // 000000006650: BF0A4252
	s_cselect_b32 s20, s36, s60                                // 000000006654: 85143C24
	v_readlane_b32 s82, v3, 3                                  // 000000006658: D2890052 00010703
	s_and_b32 s82, s82, 0xffffff                               // 000000006660: 8652FF52 00FFFFFF
	s_cmp_lt_u32 s82, s66                                      // 000000006668: BF0A4252
	s_cselect_b32 s21, s36, s60                                // 00000000666C: 85153C24
	s_mov_b64 exec, s[20:21]                                   // 000000006670: BEFE0114
	buffer_store_dword v49, v6, s[8:11], 0 offen               // 000000006674: E0701000 80023106
	buffer_store_dword v51, v6, s[8:11], 0 offen offset:128    // 00000000667C: E0701080 80023306
	s_mov_b64 exec, s[36:37]                                   // 000000006684: BEFE0124
	v_mov_b32_e32 v6, v40                                      // 000000006688: 7E0C0328
	s_mov_b64 s[60:61], 0                                      // 00000000668C: BEBC0180
	v_readlane_b32 s82, v3, 4                                  // 000000006690: D2890052 00010903
	s_and_b32 s82, s82, 0xffffff                               // 000000006698: 8652FF52 00FFFFFF
	s_cmp_lt_u32 s82, s66                                      // 0000000066A0: BF0A4252
	s_cselect_b32 s20, s36, s60                                // 0000000066A4: 85143C24
	v_readlane_b32 s82, v3, 5                                  // 0000000066A8: D2890052 00010B03
	s_and_b32 s82, s82, 0xffffff                               // 0000000066B0: 8652FF52 00FFFFFF
	s_cmp_lt_u32 s82, s66                                      // 0000000066B8: BF0A4252
	s_cselect_b32 s21, s36, s60                                // 0000000066BC: 85153C24
	s_mov_b64 exec, s[20:21]                                   // 0000000066C0: BEFE0114
	buffer_store_dword v52, v6, s[8:11], 0 offen               // 0000000066C4: E0701000 80023406
	buffer_store_dword v54, v6, s[8:11], 0 offen offset:128    // 0000000066CC: E0701080 80023606
	s_mov_b64 exec, s[36:37]                                   // 0000000066D4: BEFE0124
	v_mov_b32_e32 v6, v41                                      // 0000000066D8: 7E0C0329
	s_mov_b64 s[60:61], 0                                      // 0000000066DC: BEBC0180
	v_readlane_b32 s82, v3, 6                                  // 0000000066E0: D2890052 00010D03
	s_and_b32 s82, s82, 0xffffff                               // 0000000066E8: 8652FF52 00FFFFFF
	s_cmp_lt_u32 s82, s66                                      // 0000000066F0: BF0A4252
	s_cselect_b32 s20, s36, s60                                // 0000000066F4: 85143C24
	v_readlane_b32 s82, v3, 7                                  // 0000000066F8: D2890052 00010F03
	s_and_b32 s82, s82, 0xffffff                               // 000000006700: 8652FF52 00FFFFFF
	s_cmp_lt_u32 s82, s66                                      // 000000006708: BF0A4252
	s_cselect_b32 s21, s36, s60                                // 00000000670C: 85153C24
	s_mov_b64 exec, s[20:21]                                   // 000000006710: BEFE0114
	buffer_store_dword v53, v6, s[8:11], 0 offen               // 000000006714: E0701000 80023506
	buffer_store_dword v55, v6, s[8:11], 0 offen offset:128    // 00000000671C: E0701080 80023706
	s_mov_b64 exec, s[36:37]                                   // 000000006724: BEFE0124
	s_cmp_eq_u32 s7, 0                                         // 000000006728: BF068007
	s_cbranch_scc0 label_225C                                  // 00000000672C: BF84130D
	s_waitcnt vmcnt(8)                                         // 000000006730: BF8C0F78
	s_mov_b32 s8, s90                                          // 000000006734: BE88005A
	s_mov_b32 s9, s91                                          // 000000006738: BE89005B
	s_mul_i32 s60, s66, s71                                    // 00000000673C: 923C4742
	s_add_u32 s8, s60, s8                                      // 000000006740: 8008083C
	s_addc_u32 s9, 0, s9                                       // 000000006744: 82090980
	s_lshr_b32 s71, s71, 5                                     // 000000006748: 8F478547
	s_mul_i32 s60, s66, s71                                    // 00000000674C: 923C4742
	s_mov_b32 s10, s60                                         // 000000006750: BE8A003C
	s_lshr_b32 s61, s65, 5                                     // 000000006754: 8F3D8541
	s_mul_i32 s60, s2, 8                                       // 000000006758: 923C8802
	v_lshrrev_b32_e32 v4, 24, v30                              // 00000000675C: 20083C98
	v_mul_lo_u32 v4, s61, v4                                   // 000000006760: D2850004 0002083D
	v_and_b32_e32 v30, 0xffffff, v30                           // 000000006768: 263C3CFF 00FFFFFF
	v_mul_lo_u32 v30, s71, v30                                 // 000000006770: D285001E 00023C47
	v_add_u32_e32 v30, v4, v30                                 // 000000006778: 683C3D04
	v_add_u32_e32 v30, s60, v30                                // 00000000677C: 683C3C3C
	v_lshrrev_b32_e32 v4, 24, v31                              // 000000006780: 20083E98
	v_mul_lo_u32 v4, s61, v4                                   // 000000006784: D2850004 0002083D
	v_and_b32_e32 v31, 0xffffff, v31                           // 00000000678C: 263E3EFF 00FFFFFF
	v_mul_lo_u32 v31, s71, v31                                 // 000000006794: D285001F 00023E47
	v_add_u32_e32 v31, v4, v31                                 // 00000000679C: 683E3F04
	v_add_u32_e32 v31, s60, v31                                // 0000000067A0: 683E3E3C
	s_mov_b64 exec, 0xffff                                     // 0000000067A4: BEFE01FF 0000FFFF
	buffer_store_dword v80, v30, s[8:11], 0 offen              // 0000000067AC: E0701000 8002501E
	buffer_store_dword v82, v30, s[8:11], 0 offen offset:4     // 0000000067B4: E0701004 8002521E
	buffer_store_dword v81, v31, s[8:11], 0 offen              // 0000000067BC: E0701000 8002511F
	buffer_store_dword v83, v31, s[8:11], 0 offen offset:4     // 0000000067C4: E0701004 8002531F
	s_mov_b64 exec, s[36:37]                                   // 0000000067CC: BEFE0124
	s_branch label_225C                                        // 0000000067D0: BF8212E4

00000000000067d4 <label_0F75>:
	ds_write_b64 v20, v[48:49]                                 // 0000000067D4: D89A0000 00003014
	ds_write_b64 v20, v[52:53] offset:8704                     // 0000000067DC: D89A2200 00003414
	ds_write_b64 v20, v[56:57] offset:2176                     // 0000000067E4: D89A0880 00003814
	ds_write_b64 v20, v[60:61] offset:10880                    // 0000000067EC: D89A2A80 00003C14
	ds_write_b64 v20, v[64:65] offset:4352                     // 0000000067F4: D89A1100 00004014
	ds_write_b64 v20, v[68:69] offset:13056                    // 0000000067FC: D89A3300 00004414
	ds_write_b64 v20, v[72:73] offset:6528                     // 000000006804: D89A1980 00004814
	ds_write_b64 v20, v[76:77] offset:15232                    // 00000000680C: D89A3B80 00004C14
	v_lshrrev_b32_e32 v4, 5, v0                                // 000000006814: 20080085
	v_xor_b32_e32 v5, 1, v4                                    // 000000006818: 2A0A0881
	s_mul_i32 s60, s65, 1                                      // 00000000681C: 923C8141
	s_cmp_eq_u32 s88, 0                                        // 000000006820: BF068058
	s_cselect_b32 s61, 1, 8                                    // 000000006824: 853D8881
	s_mul_i32 s60, s61, s60                                    // 000000006828: 923C3C3D
	v_readlane_b32 s82, v3, 0                                  // 00000000682C: D2890052 00010103
	s_lshr_b32 s61, s82, 24                                    // 000000006834: 8F3D9852
	s_and_b32 s82, s82, 0xffffff                               // 000000006838: 8652FF52 00FFFFFF
	s_mul_i32 s82, s82, s71                                    // 000000006840: 92524752
	s_mul_i32 s61, s60, s61                                    // 000000006844: 923D3D3C
	s_add_u32 s82, s82, s61                                    // 000000006848: 80523D52
	v_mul_lo_u32 v6, v5, s82                                   // 00000000684C: D2850006 0000A505
	v_readlane_b32 s82, v3, 1                                  // 000000006854: D2890052 00010303
	s_lshr_b32 s61, s82, 24                                    // 00000000685C: 8F3D9852
	s_and_b32 s82, s82, 0xffffff                               // 000000006860: 8652FF52 00FFFFFF
	s_mul_i32 s82, s82, s71                                    // 000000006868: 92524752
	s_mul_i32 s61, s60, s61                                    // 00000000686C: 923D3D3C
	s_add_u32 s82, s82, s61                                    // 000000006870: 80523D52
	v_mul_lo_u32 v7, v4, s82                                   // 000000006874: D2850007 0000A504
	v_add_u32_e32 v38, v6, v7                                  // 00000000687C: 684C0F06
	v_readlane_b32 s82, v3, 2                                  // 000000006880: D2890052 00010503
	s_lshr_b32 s61, s82, 24                                    // 000000006888: 8F3D9852
	s_and_b32 s82, s82, 0xffffff                               // 00000000688C: 8652FF52 00FFFFFF
	s_mul_i32 s82, s82, s71                                    // 000000006894: 92524752
	s_mul_i32 s61, s60, s61                                    // 000000006898: 923D3D3C
	s_add_u32 s82, s82, s61                                    // 00000000689C: 80523D52
	v_mul_lo_u32 v6, v5, s82                                   // 0000000068A0: D2850006 0000A505
	v_readlane_b32 s82, v3, 3                                  // 0000000068A8: D2890052 00010703
	s_lshr_b32 s61, s82, 24                                    // 0000000068B0: 8F3D9852
	s_and_b32 s82, s82, 0xffffff                               // 0000000068B4: 8652FF52 00FFFFFF
	s_mul_i32 s82, s82, s71                                    // 0000000068BC: 92524752
	s_mul_i32 s61, s60, s61                                    // 0000000068C0: 923D3D3C
	s_add_u32 s82, s82, s61                                    // 0000000068C4: 80523D52
	v_mul_lo_u32 v7, v4, s82                                   // 0000000068C8: D2850007 0000A504
	v_add_u32_e32 v39, v6, v7                                  // 0000000068D0: 684E0F06
	v_readlane_b32 s82, v3, 4                                  // 0000000068D4: D2890052 00010903
	s_lshr_b32 s61, s82, 24                                    // 0000000068DC: 8F3D9852
	s_and_b32 s82, s82, 0xffffff                               // 0000000068E0: 8652FF52 00FFFFFF
	s_mul_i32 s82, s82, s71                                    // 0000000068E8: 92524752
	s_mul_i32 s61, s60, s61                                    // 0000000068EC: 923D3D3C
	s_add_u32 s82, s82, s61                                    // 0000000068F0: 80523D52
	v_mul_lo_u32 v6, v5, s82                                   // 0000000068F4: D2850006 0000A505
	v_readlane_b32 s82, v3, 5                                  // 0000000068FC: D2890052 00010B03
	s_lshr_b32 s61, s82, 24                                    // 000000006904: 8F3D9852
	s_and_b32 s82, s82, 0xffffff                               // 000000006908: 8652FF52 00FFFFFF
	s_mul_i32 s82, s82, s71                                    // 000000006910: 92524752
	s_mul_i32 s61, s60, s61                                    // 000000006914: 923D3D3C
	s_add_u32 s82, s82, s61                                    // 000000006918: 80523D52
	v_mul_lo_u32 v7, v4, s82                                   // 00000000691C: D2850007 0000A504
	v_add_u32_e32 v40, v6, v7                                  // 000000006924: 68500F06
	v_readlane_b32 s82, v3, 6                                  // 000000006928: D2890052 00010D03
	s_lshr_b32 s61, s82, 24                                    // 000000006930: 8F3D9852
	s_and_b32 s82, s82, 0xffffff                               // 000000006934: 8652FF52 00FFFFFF
	s_mul_i32 s82, s82, s71                                    // 00000000693C: 92524752
	s_mul_i32 s61, s60, s61                                    // 000000006940: 923D3D3C
	s_add_u32 s82, s82, s61                                    // 000000006944: 80523D52
	v_mul_lo_u32 v6, v5, s82                                   // 000000006948: D2850006 0000A505
	v_readlane_b32 s82, v3, 7                                  // 000000006950: D2890052 00010F03
	s_lshr_b32 s61, s82, 24                                    // 000000006958: 8F3D9852
	s_and_b32 s82, s82, 0xffffff                               // 00000000695C: 8652FF52 00FFFFFF
	s_mul_i32 s82, s82, s71                                    // 000000006964: 92524752
	s_mul_i32 s61, s60, s61                                    // 000000006968: 923D3D3C
	s_add_u32 s82, s82, s61                                    // 00000000696C: 80523D52
	v_mul_lo_u32 v7, v4, s82                                   // 000000006970: D2850007 0000A504
	v_add_u32_e32 v41, v6, v7                                  // 000000006978: 68520F06
	v_and_b32_e32 v4, 31, v0                                   // 00000000697C: 2608009F
	v_lshrrev_b32_e32 v4, 1, v4                                // 000000006980: 20080881
	s_cmp_eq_u32 s88, 0                                        // 000000006984: BF068058
	s_cselect_b32 s61, 2, 4                                    // 000000006988: 853D8482
	v_mul_lo_u32 v4, v4, s61                                   // 00000000698C: D2850004 00007B04
	v_and_b32_e64 v5, v0, 1                                    // 000000006994: D1130005 00010300
	v_add_u32_e32 v4, v4, v5                                   // 00000000699C: 68080B04
	v_lshlrev_b32_e32 v4, 2, v4                                // 0000000069A0: 24080882
	v_add_u32_e32 v38, v38, v4                                 // 0000000069A4: 684C0926
	v_add_u32_e32 v39, v39, v4                                 // 0000000069A8: 684E0927
	v_add_u32_e32 v40, v40, v4                                 // 0000000069AC: 68500928
	v_add_u32_e32 v41, v41, v4                                 // 0000000069B0: 68520929
	s_waitcnt lgkmcnt(0)                                       // 0000000069B4: BF8CC07F
	s_barrier                                                  // 0000000069B8: BF8A0000
	ds_read_b32 v48, v21                                       // 0000000069BC: D86C0000 30000015
	ds_read_b32 v49, v21 offset:64                             // 0000000069C4: D86C0040 31000015
	ds_read_b32 v52, v21 offset:2176                           // 0000000069CC: D86C0880 34000015
	ds_read_b32 v53, v21 offset:2240                           // 0000000069D4: D86C08C0 35000015
	ds_read_b32 v56, v21 offset:4352                           // 0000000069DC: D86C1100 38000015
	ds_read_b32 v57, v21 offset:4416                           // 0000000069E4: D86C1140 39000015
	ds_read_b32 v60, v21 offset:6528                           // 0000000069EC: D86C1980 3C000015
	ds_read_b32 v61, v21 offset:6592                           // 0000000069F4: D86C19C0 3D000015
	ds_read_b32 v64, v21 offset:8704                           // 0000000069FC: D86C2200 40000015
	ds_read_b32 v65, v21 offset:8768                           // 000000006A04: D86C2240 41000015
	ds_read_b32 v68, v21 offset:10880                          // 000000006A0C: D86C2A80 44000015
	ds_read_b32 v69, v21 offset:10944                          // 000000006A14: D86C2AC0 45000015
	ds_read_b32 v72, v21 offset:13056                          // 000000006A1C: D86C3300 48000015
	ds_read_b32 v73, v21 offset:13120                          // 000000006A24: D86C3340 49000015
	ds_read_b32 v76, v21 offset:15232                          // 000000006A2C: D86C3B80 4C000015
	ds_read_b32 v77, v21 offset:15296                          // 000000006A34: D86C3BC0 4D000015
	s_waitcnt lgkmcnt(0)                                       // 000000006A3C: BF8CC07F
	s_mov_b32 s36, -1                                          // 000000006A40: BEA400C1
	s_mov_b32 s37, -1                                          // 000000006A44: BEA500C1
	v_mov_b32_e32 v7, 0                                        // 000000006A48: 7E0E0280
	s_mov_b64 exec, s[36:37]                                   // 000000006A4C: BEFE0124
	v_mov_b32_e32 v6, v38                                      // 000000006A50: 7E0C0326
	s_mov_b64 s[60:61], 0                                      // 000000006A54: BEBC0180
	v_readlane_b32 s82, v3, 0                                  // 000000006A58: D2890052 00010103
	s_and_b32 s82, s82, 0xffffff                               // 000000006A60: 8652FF52 00FFFFFF
	s_cmp_lt_u32 s82, s66                                      // 000000006A68: BF0A4252
	s_cselect_b32 s20, s36, s60                                // 000000006A6C: 85143C24
	v_readlane_b32 s82, v3, 1                                  // 000000006A70: D2890052 00010303
	s_and_b32 s82, s82, 0xffffff                               // 000000006A78: 8652FF52 00FFFFFF
	s_cmp_lt_u32 s82, s66                                      // 000000006A80: BF0A4252
	s_cselect_b32 s21, s36, s60                                // 000000006A84: 85153C24
	s_mov_b64 exec, s[20:21]                                   // 000000006A88: BEFE0114
	global_atomic_add_f32 v6, v48, s[8:9]                      // 000000006A8C: DD348000 00083006
	global_atomic_add_f32 v6, v52, s[8:9] offset:256           // 000000006A94: DD348100 00083406
	global_atomic_add_f32 v6, v56, s[8:9] offset:512           // 000000006A9C: DD348200 00083806
	global_atomic_add_f32 v6, v60, s[8:9] offset:768           // 000000006AA4: DD348300 00083C06
	s_mov_b64 exec, s[36:37]                                   // 000000006AAC: BEFE0124
	v_mov_b32_e32 v6, v39                                      // 000000006AB0: 7E0C0327
	s_mov_b64 s[60:61], 0                                      // 000000006AB4: BEBC0180
	v_readlane_b32 s82, v3, 2                                  // 000000006AB8: D2890052 00010503
	s_and_b32 s82, s82, 0xffffff                               // 000000006AC0: 8652FF52 00FFFFFF
	s_cmp_lt_u32 s82, s66                                      // 000000006AC8: BF0A4252
	s_cselect_b32 s20, s36, s60                                // 000000006ACC: 85143C24
	v_readlane_b32 s82, v3, 3                                  // 000000006AD0: D2890052 00010703
	s_and_b32 s82, s82, 0xffffff                               // 000000006AD8: 8652FF52 00FFFFFF
	s_cmp_lt_u32 s82, s66                                      // 000000006AE0: BF0A4252
	s_cselect_b32 s21, s36, s60                                // 000000006AE4: 85153C24
	s_mov_b64 exec, s[20:21]                                   // 000000006AE8: BEFE0114
	global_atomic_add_f32 v6, v49, s[8:9]                      // 000000006AEC: DD348000 00083106
	global_atomic_add_f32 v6, v53, s[8:9] offset:256           // 000000006AF4: DD348100 00083506
	global_atomic_add_f32 v6, v57, s[8:9] offset:512           // 000000006AFC: DD348200 00083906
	global_atomic_add_f32 v6, v61, s[8:9] offset:768           // 000000006B04: DD348300 00083D06
	s_mov_b64 exec, s[36:37]                                   // 000000006B0C: BEFE0124
	v_mov_b32_e32 v6, v40                                      // 000000006B10: 7E0C0328
	s_mov_b64 s[60:61], 0                                      // 000000006B14: BEBC0180
	v_readlane_b32 s82, v3, 4                                  // 000000006B18: D2890052 00010903
	s_and_b32 s82, s82, 0xffffff                               // 000000006B20: 8652FF52 00FFFFFF
	s_cmp_lt_u32 s82, s66                                      // 000000006B28: BF0A4252
	s_cselect_b32 s20, s36, s60                                // 000000006B2C: 85143C24
	v_readlane_b32 s82, v3, 5                                  // 000000006B30: D2890052 00010B03
	s_and_b32 s82, s82, 0xffffff                               // 000000006B38: 8652FF52 00FFFFFF
	s_cmp_lt_u32 s82, s66                                      // 000000006B40: BF0A4252
	s_cselect_b32 s21, s36, s60                                // 000000006B44: 85153C24
	s_mov_b64 exec, s[20:21]                                   // 000000006B48: BEFE0114
	global_atomic_add_f32 v6, v64, s[8:9]                      // 000000006B4C: DD348000 00084006
	global_atomic_add_f32 v6, v68, s[8:9] offset:256           // 000000006B54: DD348100 00084406
	global_atomic_add_f32 v6, v72, s[8:9] offset:512           // 000000006B5C: DD348200 00084806
	global_atomic_add_f32 v6, v76, s[8:9] offset:768           // 000000006B64: DD348300 00084C06
	s_mov_b64 exec, s[36:37]                                   // 000000006B6C: BEFE0124
	v_mov_b32_e32 v6, v41                                      // 000000006B70: 7E0C0329
	s_mov_b64 s[60:61], 0                                      // 000000006B74: BEBC0180
	v_readlane_b32 s82, v3, 6                                  // 000000006B78: D2890052 00010D03
	s_and_b32 s82, s82, 0xffffff                               // 000000006B80: 8652FF52 00FFFFFF
	s_cmp_lt_u32 s82, s66                                      // 000000006B88: BF0A4252
	s_cselect_b32 s20, s36, s60                                // 000000006B8C: 85143C24
	v_readlane_b32 s82, v3, 7                                  // 000000006B90: D2890052 00010F03
	s_and_b32 s82, s82, 0xffffff                               // 000000006B98: 8652FF52 00FFFFFF
	s_cmp_lt_u32 s82, s66                                      // 000000006BA0: BF0A4252
	s_cselect_b32 s21, s36, s60                                // 000000006BA4: 85153C24
	s_mov_b64 exec, s[20:21]                                   // 000000006BA8: BEFE0114
	global_atomic_add_f32 v6, v65, s[8:9]                      // 000000006BAC: DD348000 00084106
	global_atomic_add_f32 v6, v69, s[8:9] offset:256           // 000000006BB4: DD348100 00084506
	global_atomic_add_f32 v6, v73, s[8:9] offset:512           // 000000006BBC: DD348200 00084906
	global_atomic_add_f32 v6, v77, s[8:9] offset:768           // 000000006BC4: DD348300 00084D06
	s_mov_b64 exec, s[36:37]                                   // 000000006BCC: BEFE0124
	ds_write_b64 v20, v[50:51]                                 // 000000006BD0: D89A0000 00003214
	ds_write_b64 v20, v[54:55] offset:8704                     // 000000006BD8: D89A2200 00003614
	ds_write_b64 v20, v[58:59] offset:2176                     // 000000006BE0: D89A0880 00003A14
	ds_write_b64 v20, v[62:63] offset:10880                    // 000000006BE8: D89A2A80 00003E14
	ds_write_b64 v20, v[66:67] offset:4352                     // 000000006BF0: D89A1100 00004214
	ds_write_b64 v20, v[70:71] offset:13056                    // 000000006BF8: D89A3300 00004614
	ds_write_b64 v20, v[74:75] offset:6528                     // 000000006C00: D89A1980 00004A14
	ds_write_b64 v20, v[78:79] offset:15232                    // 000000006C08: D89A3B80 00004E14
	s_waitcnt lgkmcnt(0)                                       // 000000006C10: BF8CC07F
	s_barrier                                                  // 000000006C14: BF8A0000
	ds_read_b32 v50, v21                                       // 000000006C18: D86C0000 32000015
	ds_read_b32 v51, v21 offset:64                             // 000000006C20: D86C0040 33000015
	ds_read_b32 v54, v21 offset:2176                           // 000000006C28: D86C0880 36000015
	ds_read_b32 v55, v21 offset:2240                           // 000000006C30: D86C08C0 37000015
	ds_read_b32 v58, v21 offset:4352                           // 000000006C38: D86C1100 3A000015
	ds_read_b32 v59, v21 offset:4416                           // 000000006C40: D86C1140 3B000015
	ds_read_b32 v62, v21 offset:6528                           // 000000006C48: D86C1980 3E000015
	ds_read_b32 v63, v21 offset:6592                           // 000000006C50: D86C19C0 3F000015
	ds_read_b32 v66, v21 offset:8704                           // 000000006C58: D86C2200 42000015
	ds_read_b32 v67, v21 offset:8768                           // 000000006C60: D86C2240 43000015
	ds_read_b32 v70, v21 offset:10880                          // 000000006C68: D86C2A80 46000015
	ds_read_b32 v71, v21 offset:10944                          // 000000006C70: D86C2AC0 47000015
	ds_read_b32 v74, v21 offset:13056                          // 000000006C78: D86C3300 4A000015
	ds_read_b32 v75, v21 offset:13120                          // 000000006C80: D86C3340 4B000015
	ds_read_b32 v78, v21 offset:15232                          // 000000006C88: D86C3B80 4E000015
	ds_read_b32 v79, v21 offset:15296                          // 000000006C90: D86C3BC0 4F000015
	s_waitcnt lgkmcnt(0)                                       // 000000006C98: BF8CC07F
	v_mov_b32_e32 v7, 0                                        // 000000006C9C: 7E0E0280
	s_mov_b64 exec, s[36:37]                                   // 000000006CA0: BEFE0124
	v_mov_b32_e32 v6, v38                                      // 000000006CA4: 7E0C0326
	s_mov_b64 s[60:61], 0                                      // 000000006CA8: BEBC0180
	v_readlane_b32 s82, v3, 0                                  // 000000006CAC: D2890052 00010103
	s_and_b32 s82, s82, 0xffffff                               // 000000006CB4: 8652FF52 00FFFFFF
	s_cmp_lt_u32 s82, s66                                      // 000000006CBC: BF0A4252
	s_cselect_b32 s20, s36, s60                                // 000000006CC0: 85143C24
	v_readlane_b32 s82, v3, 1                                  // 000000006CC4: D2890052 00010303
	s_and_b32 s82, s82, 0xffffff                               // 000000006CCC: 8652FF52 00FFFFFF
	s_cmp_lt_u32 s82, s66                                      // 000000006CD4: BF0A4252
	s_cselect_b32 s21, s36, s60                                // 000000006CD8: 85153C24
	s_mov_b64 exec, s[20:21]                                   // 000000006CDC: BEFE0114
	global_atomic_add_f32 v6, v50, s[8:9] offset:8             // 000000006CE0: DD348008 00083206
	global_atomic_add_f32 v6, v54, s[8:9] offset:264           // 000000006CE8: DD348108 00083606
	global_atomic_add_f32 v6, v58, s[8:9] offset:520           // 000000006CF0: DD348208 00083A06
	global_atomic_add_f32 v6, v62, s[8:9] offset:776           // 000000006CF8: DD348308 00083E06
	s_mov_b64 exec, s[36:37]                                   // 000000006D00: BEFE0124
	v_mov_b32_e32 v6, v39                                      // 000000006D04: 7E0C0327
	s_mov_b64 s[60:61], 0                                      // 000000006D08: BEBC0180
	v_readlane_b32 s82, v3, 2                                  // 000000006D0C: D2890052 00010503
	s_and_b32 s82, s82, 0xffffff                               // 000000006D14: 8652FF52 00FFFFFF
	s_cmp_lt_u32 s82, s66                                      // 000000006D1C: BF0A4252
	s_cselect_b32 s20, s36, s60                                // 000000006D20: 85143C24
	v_readlane_b32 s82, v3, 3                                  // 000000006D24: D2890052 00010703
	s_and_b32 s82, s82, 0xffffff                               // 000000006D2C: 8652FF52 00FFFFFF
	s_cmp_lt_u32 s82, s66                                      // 000000006D34: BF0A4252
	s_cselect_b32 s21, s36, s60                                // 000000006D38: 85153C24
	s_mov_b64 exec, s[20:21]                                   // 000000006D3C: BEFE0114
	global_atomic_add_f32 v6, v51, s[8:9] offset:8             // 000000006D40: DD348008 00083306
	global_atomic_add_f32 v6, v55, s[8:9] offset:264           // 000000006D48: DD348108 00083706
	global_atomic_add_f32 v6, v59, s[8:9] offset:520           // 000000006D50: DD348208 00083B06
	global_atomic_add_f32 v6, v63, s[8:9] offset:776           // 000000006D58: DD348308 00083F06
	s_mov_b64 exec, s[36:37]                                   // 000000006D60: BEFE0124
	v_mov_b32_e32 v6, v40                                      // 000000006D64: 7E0C0328
	s_mov_b64 s[60:61], 0                                      // 000000006D68: BEBC0180
	v_readlane_b32 s82, v3, 4                                  // 000000006D6C: D2890052 00010903
	s_and_b32 s82, s82, 0xffffff                               // 000000006D74: 8652FF52 00FFFFFF
	s_cmp_lt_u32 s82, s66                                      // 000000006D7C: BF0A4252
	s_cselect_b32 s20, s36, s60                                // 000000006D80: 85143C24
	v_readlane_b32 s82, v3, 5                                  // 000000006D84: D2890052 00010B03
	s_and_b32 s82, s82, 0xffffff                               // 000000006D8C: 8652FF52 00FFFFFF
	s_cmp_lt_u32 s82, s66                                      // 000000006D94: BF0A4252
	s_cselect_b32 s21, s36, s60                                // 000000006D98: 85153C24
	s_mov_b64 exec, s[20:21]                                   // 000000006D9C: BEFE0114
	global_atomic_add_f32 v6, v66, s[8:9] offset:8             // 000000006DA0: DD348008 00084206
	global_atomic_add_f32 v6, v70, s[8:9] offset:264           // 000000006DA8: DD348108 00084606
	global_atomic_add_f32 v6, v74, s[8:9] offset:520           // 000000006DB0: DD348208 00084A06
	global_atomic_add_f32 v6, v78, s[8:9] offset:776           // 000000006DB8: DD348308 00084E06
	s_mov_b64 exec, s[36:37]                                   // 000000006DC0: BEFE0124
	v_mov_b32_e32 v6, v41                                      // 000000006DC4: 7E0C0329
	s_mov_b64 s[60:61], 0                                      // 000000006DC8: BEBC0180
	v_readlane_b32 s82, v3, 6                                  // 000000006DCC: D2890052 00010D03
	s_and_b32 s82, s82, 0xffffff                               // 000000006DD4: 8652FF52 00FFFFFF
	s_cmp_lt_u32 s82, s66                                      // 000000006DDC: BF0A4252
	s_cselect_b32 s20, s36, s60                                // 000000006DE0: 85143C24
	v_readlane_b32 s82, v3, 7                                  // 000000006DE4: D2890052 00010F03
	s_and_b32 s82, s82, 0xffffff                               // 000000006DEC: 8652FF52 00FFFFFF
	s_cmp_lt_u32 s82, s66                                      // 000000006DF4: BF0A4252
	s_cselect_b32 s21, s36, s60                                // 000000006DF8: 85153C24
	s_mov_b64 exec, s[20:21]                                   // 000000006DFC: BEFE0114
	global_atomic_add_f32 v6, v67, s[8:9] offset:8             // 000000006E00: DD348008 00084306
	global_atomic_add_f32 v6, v71, s[8:9] offset:264           // 000000006E08: DD348108 00084706
	global_atomic_add_f32 v6, v75, s[8:9] offset:520           // 000000006E10: DD348208 00084B06
	global_atomic_add_f32 v6, v79, s[8:9] offset:776           // 000000006E18: DD348308 00084F06
	s_mov_b64 exec, s[36:37]                                   // 000000006E20: BEFE0124
	ds_write_b64 v20, v[80:81]                                 // 000000006E24: D89A0000 00005014
	ds_write_b64 v20, v[84:85] offset:8704                     // 000000006E2C: D89A2200 00005414
	ds_write_b64 v20, v[88:89] offset:2176                     // 000000006E34: D89A0880 00005814
	ds_write_b64 v20, v[92:93] offset:10880                    // 000000006E3C: D89A2A80 00005C14
	ds_write_b64 v20, v[96:97] offset:4352                     // 000000006E44: D89A1100 00006014
	ds_write_b64 v20, v[100:101] offset:13056                  // 000000006E4C: D89A3300 00006414
	ds_write_b64 v20, v[104:105] offset:6528                   // 000000006E54: D89A1980 00006814
	ds_write_b64 v20, v[108:109] offset:15232                  // 000000006E5C: D89A3B80 00006C14
	s_waitcnt lgkmcnt(0)                                       // 000000006E64: BF8CC07F
	s_barrier                                                  // 000000006E68: BF8A0000
	ds_read_b32 v80, v21                                       // 000000006E6C: D86C0000 50000015
	ds_read_b32 v81, v21 offset:64                             // 000000006E74: D86C0040 51000015
	ds_read_b32 v84, v21 offset:2176                           // 000000006E7C: D86C0880 54000015
	ds_read_b32 v85, v21 offset:2240                           // 000000006E84: D86C08C0 55000015
	ds_read_b32 v88, v21 offset:4352                           // 000000006E8C: D86C1100 58000015
	ds_read_b32 v89, v21 offset:4416                           // 000000006E94: D86C1140 59000015
	ds_read_b32 v92, v21 offset:6528                           // 000000006E9C: D86C1980 5C000015
	ds_read_b32 v93, v21 offset:6592                           // 000000006EA4: D86C19C0 5D000015
	ds_read_b32 v96, v21 offset:8704                           // 000000006EAC: D86C2200 60000015
	ds_read_b32 v97, v21 offset:8768                           // 000000006EB4: D86C2240 61000015
	ds_read_b32 v100, v21 offset:10880                         // 000000006EBC: D86C2A80 64000015
	ds_read_b32 v101, v21 offset:10944                         // 000000006EC4: D86C2AC0 65000015
	ds_read_b32 v104, v21 offset:13056                         // 000000006ECC: D86C3300 68000015
	ds_read_b32 v105, v21 offset:13120                         // 000000006ED4: D86C3340 69000015
	ds_read_b32 v108, v21 offset:15232                         // 000000006EDC: D86C3B80 6C000015
	ds_read_b32 v109, v21 offset:15296                         // 000000006EE4: D86C3BC0 6D000015
	s_mul_i32 s60, s65, 4                                      // 000000006EEC: 923C8441
	s_add_u32 s8, s60, s8                                      // 000000006EF0: 8008083C
	s_addc_u32 s9, 0, s9                                       // 000000006EF4: 82090980
	s_waitcnt lgkmcnt(0)                                       // 000000006EF8: BF8CC07F
	v_mov_b32_e32 v7, 0                                        // 000000006EFC: 7E0E0280
	s_mov_b64 exec, s[36:37]                                   // 000000006F00: BEFE0124
	v_mov_b32_e32 v6, v38                                      // 000000006F04: 7E0C0326
	s_mov_b64 s[60:61], 0                                      // 000000006F08: BEBC0180
	v_readlane_b32 s82, v3, 0                                  // 000000006F0C: D2890052 00010103
	s_and_b32 s82, s82, 0xffffff                               // 000000006F14: 8652FF52 00FFFFFF
	s_cmp_lt_u32 s82, s66                                      // 000000006F1C: BF0A4252
	s_cselect_b32 s20, s36, s60                                // 000000006F20: 85143C24
	v_readlane_b32 s82, v3, 1                                  // 000000006F24: D2890052 00010303
	s_and_b32 s82, s82, 0xffffff                               // 000000006F2C: 8652FF52 00FFFFFF
	s_cmp_lt_u32 s82, s66                                      // 000000006F34: BF0A4252
	s_cselect_b32 s21, s36, s60                                // 000000006F38: 85153C24
	s_mov_b64 exec, s[20:21]                                   // 000000006F3C: BEFE0114
	global_atomic_add_f32 v6, v80, s[8:9]                      // 000000006F40: DD348000 00085006
	global_atomic_add_f32 v6, v84, s[8:9] offset:256           // 000000006F48: DD348100 00085406
	global_atomic_add_f32 v6, v88, s[8:9] offset:512           // 000000006F50: DD348200 00085806
	global_atomic_add_f32 v6, v92, s[8:9] offset:768           // 000000006F58: DD348300 00085C06
	s_mov_b64 exec, s[36:37]                                   // 000000006F60: BEFE0124
	v_mov_b32_e32 v6, v39                                      // 000000006F64: 7E0C0327
	s_mov_b64 s[60:61], 0                                      // 000000006F68: BEBC0180
	v_readlane_b32 s82, v3, 2                                  // 000000006F6C: D2890052 00010503
	s_and_b32 s82, s82, 0xffffff                               // 000000006F74: 8652FF52 00FFFFFF
	s_cmp_lt_u32 s82, s66                                      // 000000006F7C: BF0A4252
	s_cselect_b32 s20, s36, s60                                // 000000006F80: 85143C24
	v_readlane_b32 s82, v3, 3                                  // 000000006F84: D2890052 00010703
	s_and_b32 s82, s82, 0xffffff                               // 000000006F8C: 8652FF52 00FFFFFF
	s_cmp_lt_u32 s82, s66                                      // 000000006F94: BF0A4252
	s_cselect_b32 s21, s36, s60                                // 000000006F98: 85153C24
	s_mov_b64 exec, s[20:21]                                   // 000000006F9C: BEFE0114
	global_atomic_add_f32 v6, v81, s[8:9]                      // 000000006FA0: DD348000 00085106
	global_atomic_add_f32 v6, v85, s[8:9] offset:256           // 000000006FA8: DD348100 00085506
	global_atomic_add_f32 v6, v89, s[8:9] offset:512           // 000000006FB0: DD348200 00085906
	global_atomic_add_f32 v6, v93, s[8:9] offset:768           // 000000006FB8: DD348300 00085D06
	s_mov_b64 exec, s[36:37]                                   // 000000006FC0: BEFE0124
	v_mov_b32_e32 v6, v40                                      // 000000006FC4: 7E0C0328
	s_mov_b64 s[60:61], 0                                      // 000000006FC8: BEBC0180
	v_readlane_b32 s82, v3, 4                                  // 000000006FCC: D2890052 00010903
	s_and_b32 s82, s82, 0xffffff                               // 000000006FD4: 8652FF52 00FFFFFF
	s_cmp_lt_u32 s82, s66                                      // 000000006FDC: BF0A4252
	s_cselect_b32 s20, s36, s60                                // 000000006FE0: 85143C24
	v_readlane_b32 s82, v3, 5                                  // 000000006FE4: D2890052 00010B03
	s_and_b32 s82, s82, 0xffffff                               // 000000006FEC: 8652FF52 00FFFFFF
	s_cmp_lt_u32 s82, s66                                      // 000000006FF4: BF0A4252
	s_cselect_b32 s21, s36, s60                                // 000000006FF8: 85153C24
	s_mov_b64 exec, s[20:21]                                   // 000000006FFC: BEFE0114
	global_atomic_add_f32 v6, v96, s[8:9]                      // 000000007000: DD348000 00086006
	global_atomic_add_f32 v6, v100, s[8:9] offset:256          // 000000007008: DD348100 00086406
	global_atomic_add_f32 v6, v104, s[8:9] offset:512          // 000000007010: DD348200 00086806
	global_atomic_add_f32 v6, v108, s[8:9] offset:768          // 000000007018: DD348300 00086C06
	s_mov_b64 exec, s[36:37]                                   // 000000007020: BEFE0124
	v_mov_b32_e32 v6, v41                                      // 000000007024: 7E0C0329
	s_mov_b64 s[60:61], 0                                      // 000000007028: BEBC0180
	v_readlane_b32 s82, v3, 6                                  // 00000000702C: D2890052 00010D03
	s_and_b32 s82, s82, 0xffffff                               // 000000007034: 8652FF52 00FFFFFF
	s_cmp_lt_u32 s82, s66                                      // 00000000703C: BF0A4252
	s_cselect_b32 s20, s36, s60                                // 000000007040: 85143C24
	v_readlane_b32 s82, v3, 7                                  // 000000007044: D2890052 00010F03
	s_and_b32 s82, s82, 0xffffff                               // 00000000704C: 8652FF52 00FFFFFF
	s_cmp_lt_u32 s82, s66                                      // 000000007054: BF0A4252
	s_cselect_b32 s21, s36, s60                                // 000000007058: 85153C24
	s_mov_b64 exec, s[20:21]                                   // 00000000705C: BEFE0114
	global_atomic_add_f32 v6, v97, s[8:9]                      // 000000007060: DD348000 00086106
	global_atomic_add_f32 v6, v101, s[8:9] offset:256          // 000000007068: DD348100 00086506
	global_atomic_add_f32 v6, v105, s[8:9] offset:512          // 000000007070: DD348200 00086906
	global_atomic_add_f32 v6, v109, s[8:9] offset:768          // 000000007078: DD348300 00086D06
	s_mov_b64 exec, s[36:37]                                   // 000000007080: BEFE0124
	ds_write_b64 v20, v[82:83]                                 // 000000007084: D89A0000 00005214
	ds_write_b64 v20, v[86:87] offset:8704                     // 00000000708C: D89A2200 00005614
	ds_write_b64 v20, v[90:91] offset:2176                     // 000000007094: D89A0880 00005A14
	ds_write_b64 v20, v[94:95] offset:10880                    // 00000000709C: D89A2A80 00005E14
	ds_write_b64 v20, v[98:99] offset:4352                     // 0000000070A4: D89A1100 00006214
	ds_write_b64 v20, v[102:103] offset:13056                  // 0000000070AC: D89A3300 00006614
	ds_write_b64 v20, v[106:107] offset:6528                   // 0000000070B4: D89A1980 00006A14
	ds_write_b64 v20, v[110:111] offset:15232                  // 0000000070BC: D89A3B80 00006E14
	s_waitcnt lgkmcnt(0)                                       // 0000000070C4: BF8CC07F
	s_barrier                                                  // 0000000070C8: BF8A0000
	ds_read_b32 v82, v21                                       // 0000000070CC: D86C0000 52000015
	ds_read_b32 v83, v21 offset:64                             // 0000000070D4: D86C0040 53000015
	ds_read_b32 v86, v21 offset:2176                           // 0000000070DC: D86C0880 56000015
	ds_read_b32 v87, v21 offset:2240                           // 0000000070E4: D86C08C0 57000015
	ds_read_b32 v90, v21 offset:4352                           // 0000000070EC: D86C1100 5A000015
	ds_read_b32 v91, v21 offset:4416                           // 0000000070F4: D86C1140 5B000015
	ds_read_b32 v94, v21 offset:6528                           // 0000000070FC: D86C1980 5E000015
	ds_read_b32 v95, v21 offset:6592                           // 000000007104: D86C19C0 5F000015
	ds_read_b32 v98, v21 offset:8704                           // 00000000710C: D86C2200 62000015
	ds_read_b32 v99, v21 offset:8768                           // 000000007114: D86C2240 63000015
	ds_read_b32 v102, v21 offset:10880                         // 00000000711C: D86C2A80 66000015
	ds_read_b32 v103, v21 offset:10944                         // 000000007124: D86C2AC0 67000015
	ds_read_b32 v106, v21 offset:13056                         // 00000000712C: D86C3300 6A000015
	ds_read_b32 v107, v21 offset:13120                         // 000000007134: D86C3340 6B000015
	ds_read_b32 v110, v21 offset:15232                         // 00000000713C: D86C3B80 6E000015
	ds_read_b32 v111, v21 offset:15296                         // 000000007144: D86C3BC0 6F000015
	s_waitcnt lgkmcnt(0)                                       // 00000000714C: BF8CC07F
	v_mov_b32_e32 v7, 0                                        // 000000007150: 7E0E0280
	s_mov_b64 exec, s[36:37]                                   // 000000007154: BEFE0124
	v_mov_b32_e32 v6, v38                                      // 000000007158: 7E0C0326
	s_mov_b64 s[60:61], 0                                      // 00000000715C: BEBC0180
	v_readlane_b32 s82, v3, 0                                  // 000000007160: D2890052 00010103
	s_and_b32 s82, s82, 0xffffff                               // 000000007168: 8652FF52 00FFFFFF
	s_cmp_lt_u32 s82, s66                                      // 000000007170: BF0A4252
	s_cselect_b32 s20, s36, s60                                // 000000007174: 85143C24
	v_readlane_b32 s82, v3, 1                                  // 000000007178: D2890052 00010303
	s_and_b32 s82, s82, 0xffffff                               // 000000007180: 8652FF52 00FFFFFF
	s_cmp_lt_u32 s82, s66                                      // 000000007188: BF0A4252
	s_cselect_b32 s21, s36, s60                                // 00000000718C: 85153C24
	s_mov_b64 exec, s[20:21]                                   // 000000007190: BEFE0114
	global_atomic_add_f32 v6, v82, s[8:9] offset:8             // 000000007194: DD348008 00085206
	global_atomic_add_f32 v6, v86, s[8:9] offset:264           // 00000000719C: DD348108 00085606
	global_atomic_add_f32 v6, v90, s[8:9] offset:520           // 0000000071A4: DD348208 00085A06
	global_atomic_add_f32 v6, v94, s[8:9] offset:776           // 0000000071AC: DD348308 00085E06
	s_mov_b64 exec, s[36:37]                                   // 0000000071B4: BEFE0124
	v_mov_b32_e32 v6, v39                                      // 0000000071B8: 7E0C0327
	s_mov_b64 s[60:61], 0                                      // 0000000071BC: BEBC0180
	v_readlane_b32 s82, v3, 2                                  // 0000000071C0: D2890052 00010503
	s_and_b32 s82, s82, 0xffffff                               // 0000000071C8: 8652FF52 00FFFFFF
	s_cmp_lt_u32 s82, s66                                      // 0000000071D0: BF0A4252
	s_cselect_b32 s20, s36, s60                                // 0000000071D4: 85143C24
	v_readlane_b32 s82, v3, 3                                  // 0000000071D8: D2890052 00010703
	s_and_b32 s82, s82, 0xffffff                               // 0000000071E0: 8652FF52 00FFFFFF
	s_cmp_lt_u32 s82, s66                                      // 0000000071E8: BF0A4252
	s_cselect_b32 s21, s36, s60                                // 0000000071EC: 85153C24
	s_mov_b64 exec, s[20:21]                                   // 0000000071F0: BEFE0114
	global_atomic_add_f32 v6, v83, s[8:9] offset:8             // 0000000071F4: DD348008 00085306
	global_atomic_add_f32 v6, v87, s[8:9] offset:264           // 0000000071FC: DD348108 00085706
	global_atomic_add_f32 v6, v91, s[8:9] offset:520           // 000000007204: DD348208 00085B06
	global_atomic_add_f32 v6, v95, s[8:9] offset:776           // 00000000720C: DD348308 00085F06
	s_mov_b64 exec, s[36:37]                                   // 000000007214: BEFE0124
	v_mov_b32_e32 v6, v40                                      // 000000007218: 7E0C0328
	s_mov_b64 s[60:61], 0                                      // 00000000721C: BEBC0180
	v_readlane_b32 s82, v3, 4                                  // 000000007220: D2890052 00010903
	s_and_b32 s82, s82, 0xffffff                               // 000000007228: 8652FF52 00FFFFFF
	s_cmp_lt_u32 s82, s66                                      // 000000007230: BF0A4252
	s_cselect_b32 s20, s36, s60                                // 000000007234: 85143C24
	v_readlane_b32 s82, v3, 5                                  // 000000007238: D2890052 00010B03
	s_and_b32 s82, s82, 0xffffff                               // 000000007240: 8652FF52 00FFFFFF
	s_cmp_lt_u32 s82, s66                                      // 000000007248: BF0A4252
	s_cselect_b32 s21, s36, s60                                // 00000000724C: 85153C24
	s_mov_b64 exec, s[20:21]                                   // 000000007250: BEFE0114
	global_atomic_add_f32 v6, v98, s[8:9] offset:8             // 000000007254: DD348008 00086206
	global_atomic_add_f32 v6, v102, s[8:9] offset:264          // 00000000725C: DD348108 00086606
	global_atomic_add_f32 v6, v106, s[8:9] offset:520          // 000000007264: DD348208 00086A06
	global_atomic_add_f32 v6, v110, s[8:9] offset:776          // 00000000726C: DD348308 00086E06
	s_mov_b64 exec, s[36:37]                                   // 000000007274: BEFE0124
	v_mov_b32_e32 v6, v41                                      // 000000007278: 7E0C0329
	s_mov_b64 s[60:61], 0                                      // 00000000727C: BEBC0180
	v_readlane_b32 s82, v3, 6                                  // 000000007280: D2890052 00010D03
	s_and_b32 s82, s82, 0xffffff                               // 000000007288: 8652FF52 00FFFFFF
	s_cmp_lt_u32 s82, s66                                      // 000000007290: BF0A4252
	s_cselect_b32 s20, s36, s60                                // 000000007294: 85143C24
	v_readlane_b32 s82, v3, 7                                  // 000000007298: D2890052 00010F03
	s_and_b32 s82, s82, 0xffffff                               // 0000000072A0: 8652FF52 00FFFFFF
	s_cmp_lt_u32 s82, s66                                      // 0000000072A8: BF0A4252
	s_cselect_b32 s21, s36, s60                                // 0000000072AC: 85153C24
	s_mov_b64 exec, s[20:21]                                   // 0000000072B0: BEFE0114
	global_atomic_add_f32 v6, v99, s[8:9] offset:8             // 0000000072B4: DD348008 00086306
	global_atomic_add_f32 v6, v103, s[8:9] offset:264          // 0000000072BC: DD348108 00086706
	global_atomic_add_f32 v6, v107, s[8:9] offset:520          // 0000000072C4: DD348208 00086B06
	global_atomic_add_f32 v6, v111, s[8:9] offset:776          // 0000000072CC: DD348308 00086F06
	s_mov_b64 exec, s[36:37]                                   // 0000000072D4: BEFE0124
	s_branch label_225C                                        // 0000000072D8: BF821022

00000000000072dc <label_123A>:
	s_waitcnt vmcnt(15) lgkmcnt(0)                             // 0000000072DC: BF8C007F
	v_mul_f32_dpp v4, v24, v32 row_newbcast:0 row_mask:0xf bank_mask:0xf// 0000000072E0: 0A0840FA FF015018
	v_mfma_f32_16x16x32_fp8_fp8 v[8:11], a[32:33], a[0:1], 0   // 0000000072E8: D3F30008 1A020120
	buffer_load_dword v25, v22, s[32:35], 0 offen              // 0000000072F0: E0501000 80081916
	buffer_load_dwordx4 a[96:99], v42, s[24:27], 0 offen       // 0000000072F8: E05C1000 8086602A
	v_mfma_f32_16x16x32_fp8_fp8 v[8:11], a[34:35], a[2:3], v[8:11]// 000000007300: D3F30008 1C220522
	v_mfma_f32_16x16x32_fp8_fp8 v[8:11], a[36:37], a[4:5], v[8:11]// 000000007308: D3F30008 1C220924
	v_mfma_f32_16x16x32_fp8_fp8 v[8:11], a[38:39], a[6:7], v[8:11]// 000000007310: D3F30008 1C220D26
	v_mfma_f32_16x16x32_fp8_fp8 v[12:15], a[40:41], a[0:1], 0  // 000000007318: D3F3000C 1A020128
	buffer_load_dwordx4 a[100:103], v42, s[24:27], 0 offen offset:1024// 000000007320: E05C1400 8086642A
	v_mfma_f32_16x16x32_fp8_fp8 v[12:15], a[42:43], a[2:3], v[12:15]// 000000007328: D3F3000C 1C32052A
	v_mfma_f32_16x16x32_fp8_fp8 v[12:15], a[44:45], a[4:5], v[12:15]// 000000007330: D3F3000C 1C32092C
	v_mfma_f32_16x16x32_fp8_fp8 v[12:15], a[46:47], a[6:7], v[12:15]// 000000007338: D3F3000C 1C320D2E
	v_fma_f32 v48, v8, v4, v48                                 // 000000007340: D1CB0030 04C20908
	v_fma_f32 v49, v9, v4, v49                                 // 000000007348: D1CB0031 04C60909
	v_fma_f32 v50, v10, v4, v50                                // 000000007350: D1CB0032 04CA090A
	v_fma_f32 v51, v11, v4, v51                                // 000000007358: D1CB0033 04CE090B
	v_mul_f32_dpp v6, v24, v32 row_newbcast:1 row_mask:0xf bank_mask:0xf// 000000007360: 0A0C40FA FF015118
	v_mfma_f32_16x16x32_fp8_fp8 v[8:11], a[48:49], a[0:1], 0   // 000000007368: D3F30008 1A020130
	buffer_load_dwordx4 a[104:107], v43, s[24:27], 0 offen     // 000000007370: E05C1000 8086682B
	v_mfma_f32_16x16x32_fp8_fp8 v[8:11], a[50:51], a[2:3], v[8:11]// 000000007378: D3F30008 1C220532
	v_mfma_f32_16x16x32_fp8_fp8 v[8:11], a[52:53], a[4:5], v[8:11]// 000000007380: D3F30008 1C220934
	v_mfma_f32_16x16x32_fp8_fp8 v[8:11], a[54:55], a[6:7], v[8:11]// 000000007388: D3F30008 1C220D36
	v_fma_f32 v56, v12, v4, v56                                // 000000007390: D1CB0038 04E2090C
	v_fma_f32 v57, v13, v4, v57                                // 000000007398: D1CB0039 04E6090D
	v_fma_f32 v58, v14, v4, v58                                // 0000000073A0: D1CB003A 04EA090E
	v_fma_f32 v59, v15, v4, v59                                // 0000000073A8: D1CB003B 04EE090F
	v_mfma_f32_16x16x32_fp8_fp8 v[12:15], a[56:57], a[0:1], 0  // 0000000073B0: D3F3000C 1A020138
	buffer_load_dwordx4 a[108:111], v43, s[24:27], 0 offen offset:1024// 0000000073B8: E05C1400 80866C2B
	v_mfma_f32_16x16x32_fp8_fp8 v[12:15], a[58:59], a[2:3], v[12:15]// 0000000073C0: D3F3000C 1C32053A
	v_mfma_f32_16x16x32_fp8_fp8 v[12:15], a[60:61], a[4:5], v[12:15]// 0000000073C8: D3F3000C 1C32093C
	v_mfma_f32_16x16x32_fp8_fp8 v[12:15], a[62:63], a[6:7], v[12:15]// 0000000073D0: D3F3000C 1C320D3E
	v_fma_f32 v64, v8, v6, v64                                 // 0000000073D8: D1CB0040 05020D08
	v_fma_f32 v65, v9, v6, v65                                 // 0000000073E0: D1CB0041 05060D09
	v_fma_f32 v66, v10, v6, v66                                // 0000000073E8: D1CB0042 050A0D0A
	v_fma_f32 v67, v11, v6, v67                                // 0000000073F0: D1CB0043 050E0D0B
	v_mul_f32_dpp v4, v24, v33 row_newbcast:0 row_mask:0xf bank_mask:0xf// 0000000073F8: 0A0842FA FF015018
	v_mfma_f32_16x16x32_fp8_fp8 v[8:11], a[32:33], a[8:9], 0   // 000000007400: D3F30008 1A021120
	buffer_load_dwordx4 a[112:115], v44, s[24:27], 0 offen     // 000000007408: E05C1000 8086702C
	v_mfma_f32_16x16x32_fp8_fp8 v[8:11], a[34:35], a[10:11], v[8:11]// 000000007410: D3F30008 1C221522
	v_mfma_f32_16x16x32_fp8_fp8 v[8:11], a[36:37], a[12:13], v[8:11]// 000000007418: D3F30008 1C221924
	v_mfma_f32_16x16x32_fp8_fp8 v[8:11], a[38:39], a[14:15], v[8:11]// 000000007420: D3F30008 1C221D26
	v_fma_f32 v72, v12, v6, v72                                // 000000007428: D1CB0048 05220D0C
	v_fma_f32 v73, v13, v6, v73                                // 000000007430: D1CB0049 05260D0D
	v_fma_f32 v74, v14, v6, v74                                // 000000007438: D1CB004A 052A0D0E
	v_fma_f32 v75, v15, v6, v75                                // 000000007440: D1CB004B 052E0D0F
	v_mfma_f32_16x16x32_fp8_fp8 v[12:15], a[40:41], a[8:9], 0  // 000000007448: D3F3000C 1A021128
	buffer_load_dwordx4 a[116:119], v44, s[24:27], 0 offen offset:1024// 000000007450: E05C1400 8086742C
	v_mfma_f32_16x16x32_fp8_fp8 v[12:15], a[42:43], a[10:11], v[12:15]// 000000007458: D3F3000C 1C32152A
	v_mfma_f32_16x16x32_fp8_fp8 v[12:15], a[44:45], a[12:13], v[12:15]// 000000007460: D3F3000C 1C32192C
	v_mfma_f32_16x16x32_fp8_fp8 v[12:15], a[46:47], a[14:15], v[12:15]// 000000007468: D3F3000C 1C321D2E
	v_fma_f32 v52, v8, v4, v52                                 // 000000007470: D1CB0034 04D20908
	v_fma_f32 v53, v9, v4, v53                                 // 000000007478: D1CB0035 04D60909
	v_fma_f32 v54, v10, v4, v54                                // 000000007480: D1CB0036 04DA090A
	v_fma_f32 v55, v11, v4, v55                                // 000000007488: D1CB0037 04DE090B
	v_mul_f32_dpp v6, v24, v33 row_newbcast:1 row_mask:0xf bank_mask:0xf// 000000007490: 0A0C42FA FF015118
	v_mfma_f32_16x16x32_fp8_fp8 v[8:11], a[48:49], a[8:9], 0   // 000000007498: D3F30008 1A021130
	buffer_load_dwordx4 a[120:123], v45, s[24:27], 0 offen     // 0000000074A0: E05C1000 8086782D
	v_mfma_f32_16x16x32_fp8_fp8 v[8:11], a[50:51], a[10:11], v[8:11]// 0000000074A8: D3F30008 1C221532
	v_mfma_f32_16x16x32_fp8_fp8 v[8:11], a[52:53], a[12:13], v[8:11]// 0000000074B0: D3F30008 1C221934
	v_mfma_f32_16x16x32_fp8_fp8 v[8:11], a[54:55], a[14:15], v[8:11]// 0000000074B8: D3F30008 1C221D36
	v_fma_f32 v60, v12, v4, v60                                // 0000000074C0: D1CB003C 04F2090C
	v_fma_f32 v61, v13, v4, v61                                // 0000000074C8: D1CB003D 04F6090D
	v_fma_f32 v62, v14, v4, v62                                // 0000000074D0: D1CB003E 04FA090E
	v_fma_f32 v63, v15, v4, v63                                // 0000000074D8: D1CB003F 04FE090F
	v_mfma_f32_16x16x32_fp8_fp8 v[12:15], a[56:57], a[8:9], 0  // 0000000074E0: D3F3000C 1A021138
	buffer_load_dwordx4 a[124:127], v45, s[24:27], 0 offen offset:1024// 0000000074E8: E05C1400 80867C2D
	buffer_load_dword v38, s[20:23], 0 offen lds               // 0000000074F0: E0511000 80050026
	s_add_u32 m0, 0x100, s50                                   // 0000000074F8: 807C32FF 00000100
	v_mfma_f32_16x16x32_fp8_fp8 v[12:15], a[58:59], a[10:11], v[12:15]// 000000007500: D3F3000C 1C32153A
	v_mfma_f32_16x16x32_fp8_fp8 v[12:15], a[60:61], a[12:13], v[12:15]// 000000007508: D3F3000C 1C32193C
	buffer_load_dword v39, s[20:23], 0 offen lds               // 000000007510: E0511000 80050027
	s_add_u32 m0, 0x200, s50                                   // 000000007518: 807C32FF 00000200
	v_mfma_f32_16x16x32_fp8_fp8 v[12:15], a[62:63], a[14:15], v[12:15]// 000000007520: D3F3000C 1C321D3E
	v_fma_f32 v68, v8, v6, v68                                 // 000000007528: D1CB0044 05120D08
	v_fma_f32 v69, v9, v6, v69                                 // 000000007530: D1CB0045 05160D09
	v_fma_f32 v70, v10, v6, v70                                // 000000007538: D1CB0046 051A0D0A
	v_fma_f32 v71, v11, v6, v71                                // 000000007540: D1CB0047 051E0D0B
	v_fma_f32 v76, v12, v6, v76                                // 000000007548: D1CB004C 05320D0C
	v_fma_f32 v77, v13, v6, v77                                // 000000007550: D1CB004D 05360D0D
	v_fma_f32 v78, v14, v6, v78                                // 000000007558: D1CB004E 053A0D0E
	v_fma_f32 v79, v15, v6, v79                                // 000000007560: D1CB004F 053E0D0F
	buffer_load_dword v40, s[20:23], 0 offen lds               // 000000007568: E0511000 80050028
	s_add_u32 m0, 0x300, s50                                   // 000000007570: 807C32FF 00000300
	buffer_load_dword v41, s[20:23], 0 offen lds               // 000000007578: E0511000 80050029
	s_add_u32 m0, 0, s48                                       // 000000007580: 807C3080
	buffer_load_dword v36, v30, s[28:31], 0 offen              // 000000007584: E0501000 8007241E
	buffer_load_dword v37, v31, s[28:31], 0 offen              // 00000000758C: E0501000 8007251F
	s_waitcnt vmcnt(15)                                        // 000000007594: BF8C0F7F
	s_barrier                                                  // 000000007598: BF8A0000
	v_mul_f32_dpp v4, v27, v32 row_newbcast:0 row_mask:0xf bank_mask:0xf// 00000000759C: 0A0840FA FF01501B
	v_mfma_f32_16x16x32_fp8_fp8 v[8:11], a[64:65], a[0:1], 0   // 0000000075A4: D3F30008 1A020140
	buffer_load_dword v28, v23, s[32:35], 0 offen              // 0000000075AC: E0501000 80081C17
	buffer_load_dwordx4 a[32:35], v42, s[84:87], 0 offen       // 0000000075B4: E05C1000 8095202A
	v_mfma_f32_16x16x32_fp8_fp8 v[8:11], a[66:67], a[2:3], v[8:11]// 0000000075BC: D3F30008 1C220542
	v_mfma_f32_16x16x32_fp8_fp8 v[8:11], a[68:69], a[4:5], v[8:11]// 0000000075C4: D3F30008 1C220944
	ds_read_b128 a[16:19], v2 offset:4224                      // 0000000075CC: DBFE1080 10000002
	ds_read_b128 a[20:23], v2 offset:4288                      // 0000000075D4: DBFE10C0 14000002
	v_mfma_f32_16x16x32_fp8_fp8 v[8:11], a[70:71], a[6:7], v[8:11]// 0000000075DC: D3F30008 1C220D46
	v_mfma_f32_16x16x32_fp8_fp8 v[12:15], a[72:73], a[0:1], 0  // 0000000075E4: D3F3000C 1A020148
	buffer_load_dwordx4 a[36:39], v42, s[84:87], 0 offen offset:1024// 0000000075EC: E05C1400 8095242A
	v_mfma_f32_16x16x32_fp8_fp8 v[12:15], a[74:75], a[2:3], v[12:15]// 0000000075F4: D3F3000C 1C32054A
	v_mfma_f32_16x16x32_fp8_fp8 v[12:15], a[76:77], a[4:5], v[12:15]// 0000000075FC: D3F3000C 1C32094C
	ds_read_b128 a[24:27], v2 offset:4736                      // 000000007604: DBFE1280 18000002
	ds_read_b128 a[28:31], v2 offset:4800                      // 00000000760C: DBFE12C0 1C000002
	v_mfma_f32_16x16x32_fp8_fp8 v[12:15], a[78:79], a[6:7], v[12:15]// 000000007614: D3F3000C 1C320D4E
	v_fma_f32 v80, v8, v4, v80                                 // 00000000761C: D1CB0050 05420908
	v_fma_f32 v81, v9, v4, v81                                 // 000000007624: D1CB0051 05460909
	v_fma_f32 v82, v10, v4, v82                                // 00000000762C: D1CB0052 054A090A
	v_fma_f32 v83, v11, v4, v83                                // 000000007634: D1CB0053 054E090B
	v_mul_f32_dpp v6, v27, v32 row_newbcast:1 row_mask:0xf bank_mask:0xf// 00000000763C: 0A0C40FA FF01511B
	v_mfma_f32_16x16x32_fp8_fp8 v[8:11], a[80:81], a[0:1], 0   // 000000007644: D3F30008 1A020150
	buffer_load_dwordx4 a[40:43], v43, s[84:87], 0 offen       // 00000000764C: E05C1000 8095282B
	v_mfma_f32_16x16x32_fp8_fp8 v[8:11], a[82:83], a[2:3], v[8:11]// 000000007654: D3F30008 1C220552
	v_mfma_f32_16x16x32_fp8_fp8 v[8:11], a[84:85], a[4:5], v[8:11]// 00000000765C: D3F30008 1C220954
	v_mfma_f32_16x16x32_fp8_fp8 v[8:11], a[86:87], a[6:7], v[8:11]// 000000007664: D3F30008 1C220D56
	v_fma_f32 v88, v12, v4, v88                                // 00000000766C: D1CB0058 0562090C
	v_fma_f32 v89, v13, v4, v89                                // 000000007674: D1CB0059 0566090D
	v_fma_f32 v90, v14, v4, v90                                // 00000000767C: D1CB005A 056A090E
	v_fma_f32 v91, v15, v4, v91                                // 000000007684: D1CB005B 056E090F
	v_mfma_f32_16x16x32_fp8_fp8 v[12:15], a[88:89], a[0:1], 0  // 00000000768C: D3F3000C 1A020158
	buffer_load_dwordx4 a[44:47], v43, s[84:87], 0 offen offset:1024// 000000007694: E05C1400 80952C2B
	v_mfma_f32_16x16x32_fp8_fp8 v[12:15], a[90:91], a[2:3], v[12:15]// 00000000769C: D3F3000C 1C32055A
	v_mfma_f32_16x16x32_fp8_fp8 v[12:15], a[92:93], a[4:5], v[12:15]// 0000000076A4: D3F3000C 1C32095C
	v_mfma_f32_16x16x32_fp8_fp8 v[12:15], a[94:95], a[6:7], v[12:15]// 0000000076AC: D3F3000C 1C320D5E
	v_fma_f32 v96, v8, v6, v96                                 // 0000000076B4: D1CB0060 05820D08
	v_fma_f32 v97, v9, v6, v97                                 // 0000000076BC: D1CB0061 05860D09
	v_fma_f32 v98, v10, v6, v98                                // 0000000076C4: D1CB0062 058A0D0A
	v_fma_f32 v99, v11, v6, v99                                // 0000000076CC: D1CB0063 058E0D0B
	v_mul_f32_dpp v4, v27, v33 row_newbcast:0 row_mask:0xf bank_mask:0xf// 0000000076D4: 0A0842FA FF01501B
	v_mfma_f32_16x16x32_fp8_fp8 v[8:11], a[64:65], a[8:9], 0   // 0000000076DC: D3F30008 1A021140
	buffer_load_dwordx4 a[48:51], v44, s[84:87], 0 offen       // 0000000076E4: E05C1000 8095302C
	v_mfma_f32_16x16x32_fp8_fp8 v[8:11], a[66:67], a[10:11], v[8:11]// 0000000076EC: D3F30008 1C221542
	v_mfma_f32_16x16x32_fp8_fp8 v[8:11], a[68:69], a[12:13], v[8:11]// 0000000076F4: D3F30008 1C221944
	v_mfma_f32_16x16x32_fp8_fp8 v[8:11], a[70:71], a[14:15], v[8:11]// 0000000076FC: D3F30008 1C221D46
	v_fma_f32 v104, v12, v6, v104                              // 000000007704: D1CB0068 05A20D0C
	v_fma_f32 v105, v13, v6, v105                              // 00000000770C: D1CB0069 05A60D0D
	v_fma_f32 v106, v14, v6, v106                              // 000000007714: D1CB006A 05AA0D0E
	v_fma_f32 v107, v15, v6, v107                              // 00000000771C: D1CB006B 05AE0D0F
	v_mfma_f32_16x16x32_fp8_fp8 v[12:15], a[72:73], a[8:9], 0  // 000000007724: D3F3000C 1A021148
	buffer_load_dwordx4 a[52:55], v44, s[84:87], 0 offen offset:1024// 00000000772C: E05C1400 8095342C
	v_mfma_f32_16x16x32_fp8_fp8 v[12:15], a[74:75], a[10:11], v[12:15]// 000000007734: D3F3000C 1C32154A
	v_mfma_f32_16x16x32_fp8_fp8 v[12:15], a[76:77], a[12:13], v[12:15]// 00000000773C: D3F3000C 1C32194C
	v_mfma_f32_16x16x32_fp8_fp8 v[12:15], a[78:79], a[14:15], v[12:15]// 000000007744: D3F3000C 1C321D4E
	v_fma_f32 v84, v8, v4, v84                                 // 00000000774C: D1CB0054 05520908
	v_fma_f32 v85, v9, v4, v85                                 // 000000007754: D1CB0055 05560909
	v_fma_f32 v86, v10, v4, v86                                // 00000000775C: D1CB0056 055A090A
	v_fma_f32 v87, v11, v4, v87                                // 000000007764: D1CB0057 055E090B
	v_mul_f32_dpp v6, v27, v33 row_newbcast:1 row_mask:0xf bank_mask:0xf// 00000000776C: 0A0C42FA FF01511B
	v_mfma_f32_16x16x32_fp8_fp8 v[8:11], a[80:81], a[8:9], 0   // 000000007774: D3F30008 1A021150
	buffer_load_dwordx4 a[56:59], v45, s[84:87], 0 offen       // 00000000777C: E05C1000 8095382D
	s_add_u32 s60, 0x180, s80                                  // 000000007784: 803C50FF 00000180
	s_cmp_lt_u32 s60, s81                                      // 00000000778C: BF0A513C
	s_cselect_b32 s57, s57, 0                                  // 000000007790: 85398039
	s_cselect_b32 s3, s3, 0                                    // 000000007794: 85038003
	v_mfma_f32_16x16x32_fp8_fp8 v[8:11], a[82:83], a[10:11], v[8:11]// 000000007798: D3F30008 1C221552
	s_add_u32 s60, 0x100, s80                                  // 0000000077A0: 803C50FF 00000100
	s_cmp_lt_u32 s60, s81                                      // 0000000077A8: BF0A513C
	s_cselect_b32 s58, s58, 0                                  // 0000000077AC: 853A803A
	v_mfma_f32_16x16x32_fp8_fp8 v[8:11], a[84:85], a[12:13], v[8:11]// 0000000077B0: D3F30008 1C221954
	s_add_u32 s60, 0x100, s80                                  // 0000000077B8: 803C50FF 00000100
	s_cmp_lt_u32 s60, s81                                      // 0000000077C0: BF0A513C
	s_cselect_b32 s83, s83, 0                                  // 0000000077C4: 85538053
	s_cselect_b32 s4, s4, 0                                    // 0000000077C8: 85048004
	v_mfma_f32_16x16x32_fp8_fp8 v[8:11], a[86:87], a[14:15], v[8:11]// 0000000077CC: D3F30008 1C221D56
	s_add_u32 s24, s58, s24                                    // 0000000077D4: 8018183A
	s_addc_u32 s25, 0, s25                                     // 0000000077D8: 82191980
	v_fma_f32 v92, v12, v4, v92                                // 0000000077DC: D1CB005C 0572090C
	v_fma_f32 v93, v13, v4, v93                                // 0000000077E4: D1CB005D 0576090D
	v_fma_f32 v94, v14, v4, v94                                // 0000000077EC: D1CB005E 057A090E
	v_fma_f32 v95, v15, v4, v95                                // 0000000077F4: D1CB005F 057E090F
	v_mfma_f32_16x16x32_fp8_fp8 v[12:15], a[88:89], a[8:9], 0  // 0000000077FC: D3F3000C 1A021158
	buffer_load_dwordx4 a[60:63], v45, s[84:87], 0 offen offset:1024// 000000007804: E05C1400 80953C2D
	s_add_u32 s20, s57, s20                                    // 00000000780C: 80141439
	s_addc_u32 s21, 0, s21                                     // 000000007810: 82151580
	s_add_u32 s28, s3, s28                                     // 000000007814: 801C1C03
	s_addc_u32 s29, 0, s29                                     // 000000007818: 821D1D80
	v_mfma_f32_16x16x32_fp8_fp8 v[12:15], a[90:91], a[10:11], v[12:15]// 00000000781C: D3F3000C 1C32155A
	s_add_u32 s84, s83, s84                                    // 000000007824: 80545453
	s_addc_u32 s85, 0, s85                                     // 000000007828: 82555580
	v_mfma_f32_16x16x32_fp8_fp8 v[12:15], a[92:93], a[12:13], v[12:15]// 00000000782C: D3F3000C 1C32195C
	s_add_u32 s32, s4, s32                                     // 000000007834: 80202004
	s_addc_u32 s33, 0, s33                                     // 000000007838: 82212180
	v_mfma_f32_16x16x32_fp8_fp8 v[12:15], a[94:95], a[14:15], v[12:15]// 00000000783C: D3F3000C 1C321D5E
	v_fma_f32 v100, v8, v6, v100                               // 000000007844: D1CB0064 05920D08
	v_fma_f32 v101, v9, v6, v101                               // 00000000784C: D1CB0065 05960D09
	v_fma_f32 v102, v10, v6, v102                              // 000000007854: D1CB0066 059A0D0A
	v_fma_f32 v103, v11, v6, v103                              // 00000000785C: D1CB0067 059E0D0B
	v_fma_f32 v108, v12, v6, v108                              // 000000007864: D1CB006C 05B20D0C
	v_fma_f32 v109, v13, v6, v109                              // 00000000786C: D1CB006D 05B60D0D
	v_fma_f32 v110, v14, v6, v110                              // 000000007874: D1CB006E 05BA0D0E
	v_fma_f32 v111, v15, v6, v111                              // 00000000787C: D1CB006F 05BE0D0F
	s_addk_i32 s80, 0x80                                       // 000000007884: B7500080
	s_cmp_lt_i32 s80, s81                                      // 000000007888: BF045150
	s_cbranch_scc0 label_1AC9                                  // 00000000788C: BF840722
	s_waitcnt vmcnt(15) lgkmcnt(0)                             // 000000007890: BF8C007F
	v_mul_f32_dpp v4, v25, v34 row_newbcast:0 row_mask:0xf bank_mask:0xf// 000000007894: 0A0844FA FF015019
	v_mfma_f32_16x16x32_fp8_fp8 v[8:11], a[96:97], a[16:17], 0 // 00000000789C: D3F30008 1A022160
	buffer_load_dword v26, v22, s[32:35], 0 offen              // 0000000078A4: E0501000 80081A16
	buffer_load_dwordx4 a[64:67], v42, s[24:27], 0 offen       // 0000000078AC: E05C1000 8086402A
	v_mfma_f32_16x16x32_fp8_fp8 v[8:11], a[98:99], a[18:19], v[8:11]// 0000000078B4: D3F30008 1C222562
	v_mfma_f32_16x16x32_fp8_fp8 v[8:11], a[100:101], a[20:21], v[8:11]// 0000000078BC: D3F30008 1C222964
	v_mfma_f32_16x16x32_fp8_fp8 v[8:11], a[102:103], a[22:23], v[8:11]// 0000000078C4: D3F30008 1C222D66
	v_mfma_f32_16x16x32_fp8_fp8 v[12:15], a[104:105], a[16:17], 0// 0000000078CC: D3F3000C 1A022168
	buffer_load_dwordx4 a[68:71], v42, s[24:27], 0 offen offset:1024// 0000000078D4: E05C1400 8086442A
	v_mfma_f32_16x16x32_fp8_fp8 v[12:15], a[106:107], a[18:19], v[12:15]// 0000000078DC: D3F3000C 1C32256A
	v_mfma_f32_16x16x32_fp8_fp8 v[12:15], a[108:109], a[20:21], v[12:15]// 0000000078E4: D3F3000C 1C32296C
	v_mfma_f32_16x16x32_fp8_fp8 v[12:15], a[110:111], a[22:23], v[12:15]// 0000000078EC: D3F3000C 1C322D6E
	v_fma_f32 v48, v8, v4, v48                                 // 0000000078F4: D1CB0030 04C20908
	v_fma_f32 v49, v9, v4, v49                                 // 0000000078FC: D1CB0031 04C60909
	v_fma_f32 v50, v10, v4, v50                                // 000000007904: D1CB0032 04CA090A
	v_fma_f32 v51, v11, v4, v51                                // 00000000790C: D1CB0033 04CE090B
	v_mul_f32_dpp v6, v25, v34 row_newbcast:1 row_mask:0xf bank_mask:0xf// 000000007914: 0A0C44FA FF015119
	v_mfma_f32_16x16x32_fp8_fp8 v[8:11], a[112:113], a[16:17], 0// 00000000791C: D3F30008 1A022170
	buffer_load_dwordx4 a[72:75], v43, s[24:27], 0 offen       // 000000007924: E05C1000 8086482B
	v_mfma_f32_16x16x32_fp8_fp8 v[8:11], a[114:115], a[18:19], v[8:11]// 00000000792C: D3F30008 1C222572
	v_mfma_f32_16x16x32_fp8_fp8 v[8:11], a[116:117], a[20:21], v[8:11]// 000000007934: D3F30008 1C222974
	v_mfma_f32_16x16x32_fp8_fp8 v[8:11], a[118:119], a[22:23], v[8:11]// 00000000793C: D3F30008 1C222D76
	v_fma_f32 v56, v12, v4, v56                                // 000000007944: D1CB0038 04E2090C
	v_fma_f32 v57, v13, v4, v57                                // 00000000794C: D1CB0039 04E6090D
	v_fma_f32 v58, v14, v4, v58                                // 000000007954: D1CB003A 04EA090E
	v_fma_f32 v59, v15, v4, v59                                // 00000000795C: D1CB003B 04EE090F
	v_mfma_f32_16x16x32_fp8_fp8 v[12:15], a[120:121], a[16:17], 0// 000000007964: D3F3000C 1A022178
	buffer_load_dwordx4 a[76:79], v43, s[24:27], 0 offen offset:1024// 00000000796C: E05C1400 80864C2B
	v_mfma_f32_16x16x32_fp8_fp8 v[12:15], a[122:123], a[18:19], v[12:15]// 000000007974: D3F3000C 1C32257A
	v_mfma_f32_16x16x32_fp8_fp8 v[12:15], a[124:125], a[20:21], v[12:15]// 00000000797C: D3F3000C 1C32297C
	v_mfma_f32_16x16x32_fp8_fp8 v[12:15], a[126:127], a[22:23], v[12:15]// 000000007984: D3F3000C 1C322D7E
	v_fma_f32 v64, v8, v6, v64                                 // 00000000798C: D1CB0040 05020D08
	v_fma_f32 v65, v9, v6, v65                                 // 000000007994: D1CB0041 05060D09
	v_fma_f32 v66, v10, v6, v66                                // 00000000799C: D1CB0042 050A0D0A
	v_fma_f32 v67, v11, v6, v67                                // 0000000079A4: D1CB0043 050E0D0B
	v_mul_f32_dpp v4, v25, v35 row_newbcast:0 row_mask:0xf bank_mask:0xf// 0000000079AC: 0A0846FA FF015019
	v_mfma_f32_16x16x32_fp8_fp8 v[8:11], a[96:97], a[24:25], 0 // 0000000079B4: D3F30008 1A023160
	buffer_load_dwordx4 a[80:83], v44, s[24:27], 0 offen       // 0000000079BC: E05C1000 8086502C
	v_mfma_f32_16x16x32_fp8_fp8 v[8:11], a[98:99], a[26:27], v[8:11]// 0000000079C4: D3F30008 1C223562
	v_mfma_f32_16x16x32_fp8_fp8 v[8:11], a[100:101], a[28:29], v[8:11]// 0000000079CC: D3F30008 1C223964
	v_mfma_f32_16x16x32_fp8_fp8 v[8:11], a[102:103], a[30:31], v[8:11]// 0000000079D4: D3F30008 1C223D66
	v_fma_f32 v72, v12, v6, v72                                // 0000000079DC: D1CB0048 05220D0C
	v_fma_f32 v73, v13, v6, v73                                // 0000000079E4: D1CB0049 05260D0D
	v_fma_f32 v74, v14, v6, v74                                // 0000000079EC: D1CB004A 052A0D0E
	v_fma_f32 v75, v15, v6, v75                                // 0000000079F4: D1CB004B 052E0D0F
	v_mfma_f32_16x16x32_fp8_fp8 v[12:15], a[104:105], a[24:25], 0// 0000000079FC: D3F3000C 1A023168
	buffer_load_dwordx4 a[84:87], v44, s[24:27], 0 offen offset:1024// 000000007A04: E05C1400 8086542C
	v_mfma_f32_16x16x32_fp8_fp8 v[12:15], a[106:107], a[26:27], v[12:15]// 000000007A0C: D3F3000C 1C32356A
	v_mfma_f32_16x16x32_fp8_fp8 v[12:15], a[108:109], a[28:29], v[12:15]// 000000007A14: D3F3000C 1C32396C
	v_mfma_f32_16x16x32_fp8_fp8 v[12:15], a[110:111], a[30:31], v[12:15]// 000000007A1C: D3F3000C 1C323D6E
	v_fma_f32 v52, v8, v4, v52                                 // 000000007A24: D1CB0034 04D20908
	v_fma_f32 v53, v9, v4, v53                                 // 000000007A2C: D1CB0035 04D60909
	v_fma_f32 v54, v10, v4, v54                                // 000000007A34: D1CB0036 04DA090A
	v_fma_f32 v55, v11, v4, v55                                // 000000007A3C: D1CB0037 04DE090B
	v_mul_f32_dpp v6, v25, v35 row_newbcast:1 row_mask:0xf bank_mask:0xf// 000000007A44: 0A0C46FA FF015119
	v_mfma_f32_16x16x32_fp8_fp8 v[8:11], a[112:113], a[24:25], 0// 000000007A4C: D3F30008 1A023170
	buffer_load_dwordx4 a[88:91], v45, s[24:27], 0 offen       // 000000007A54: E05C1000 8086582D
	v_mfma_f32_16x16x32_fp8_fp8 v[8:11], a[114:115], a[26:27], v[8:11]// 000000007A5C: D3F30008 1C223572
	v_mfma_f32_16x16x32_fp8_fp8 v[8:11], a[116:117], a[28:29], v[8:11]// 000000007A64: D3F30008 1C223974
	v_mfma_f32_16x16x32_fp8_fp8 v[8:11], a[118:119], a[30:31], v[8:11]// 000000007A6C: D3F30008 1C223D76
	v_fma_f32 v60, v12, v4, v60                                // 000000007A74: D1CB003C 04F2090C
	v_fma_f32 v61, v13, v4, v61                                // 000000007A7C: D1CB003D 04F6090D
	v_fma_f32 v62, v14, v4, v62                                // 000000007A84: D1CB003E 04FA090E
	v_fma_f32 v63, v15, v4, v63                                // 000000007A8C: D1CB003F 04FE090F
	v_mfma_f32_16x16x32_fp8_fp8 v[12:15], a[120:121], a[24:25], 0// 000000007A94: D3F3000C 1A023178
	buffer_load_dwordx4 a[92:95], v45, s[24:27], 0 offen offset:1024// 000000007A9C: E05C1400 80865C2D
	buffer_load_dword v38, s[20:23], 0 offen lds               // 000000007AA4: E0511000 80050026
	s_add_u32 m0, 0x100, s48                                   // 000000007AAC: 807C30FF 00000100
	v_mfma_f32_16x16x32_fp8_fp8 v[12:15], a[122:123], a[26:27], v[12:15]// 000000007AB4: D3F3000C 1C32357A
	v_mfma_f32_16x16x32_fp8_fp8 v[12:15], a[124:125], a[28:29], v[12:15]// 000000007ABC: D3F3000C 1C32397C
	buffer_load_dword v39, s[20:23], 0 offen lds               // 000000007AC4: E0511000 80050027
	s_add_u32 m0, 0x200, s48                                   // 000000007ACC: 807C30FF 00000200
	v_mfma_f32_16x16x32_fp8_fp8 v[12:15], a[126:127], a[30:31], v[12:15]// 000000007AD4: D3F3000C 1C323D7E
	v_fma_f32 v68, v8, v6, v68                                 // 000000007ADC: D1CB0044 05120D08
	v_fma_f32 v69, v9, v6, v69                                 // 000000007AE4: D1CB0045 05160D09
	v_fma_f32 v70, v10, v6, v70                                // 000000007AEC: D1CB0046 051A0D0A
	v_fma_f32 v71, v11, v6, v71                                // 000000007AF4: D1CB0047 051E0D0B
	v_fma_f32 v76, v12, v6, v76                                // 000000007AFC: D1CB004C 05320D0C
	v_fma_f32 v77, v13, v6, v77                                // 000000007B04: D1CB004D 05360D0D
	v_fma_f32 v78, v14, v6, v78                                // 000000007B0C: D1CB004E 053A0D0E
	v_fma_f32 v79, v15, v6, v79                                // 000000007B14: D1CB004F 053E0D0F
	buffer_load_dword v40, s[20:23], 0 offen lds               // 000000007B1C: E0511000 80050028
	s_add_u32 m0, 0x300, s48                                   // 000000007B24: 807C30FF 00000300
	buffer_load_dword v41, s[20:23], 0 offen lds               // 000000007B2C: E0511000 80050029
	s_add_u32 m0, 0, s49                                       // 000000007B34: 807C3180
	buffer_load_dword v32, v30, s[28:31], 0 offen              // 000000007B38: E0501000 8007201E
	buffer_load_dword v33, v31, s[28:31], 0 offen              // 000000007B40: E0501000 8007211F
	s_waitcnt vmcnt(15)                                        // 000000007B48: BF8C0F7F
	s_barrier                                                  // 000000007B4C: BF8A0000
	v_mul_f32_dpp v4, v28, v34 row_newbcast:0 row_mask:0xf bank_mask:0xf// 000000007B50: 0A0844FA FF01501C
	v_mfma_f32_16x16x32_fp8_fp8 v[8:11], a[32:33], a[16:17], 0 // 000000007B58: D3F30008 1A022120
	buffer_load_dword v29, v23, s[32:35], 0 offen              // 000000007B60: E0501000 80081D17
	buffer_load_dwordx4 a[96:99], v42, s[84:87], 0 offen       // 000000007B68: E05C1000 8095602A
	v_mfma_f32_16x16x32_fp8_fp8 v[8:11], a[34:35], a[18:19], v[8:11]// 000000007B70: D3F30008 1C222522
	v_mfma_f32_16x16x32_fp8_fp8 v[8:11], a[36:37], a[20:21], v[8:11]// 000000007B78: D3F30008 1C222924
	ds_read_b128 a[0:3], v2 offset:8448                        // 000000007B80: DBFE2100 00000002
	ds_read_b128 a[4:7], v2 offset:8512                        // 000000007B88: DBFE2140 04000002
	v_mfma_f32_16x16x32_fp8_fp8 v[8:11], a[38:39], a[22:23], v[8:11]// 000000007B90: D3F30008 1C222D26
	v_mfma_f32_16x16x32_fp8_fp8 v[12:15], a[40:41], a[16:17], 0// 000000007B98: D3F3000C 1A022128
	buffer_load_dwordx4 a[100:103], v42, s[84:87], 0 offen offset:1024// 000000007BA0: E05C1400 8095642A
	v_mfma_f32_16x16x32_fp8_fp8 v[12:15], a[42:43], a[18:19], v[12:15]// 000000007BA8: D3F3000C 1C32252A
	v_mfma_f32_16x16x32_fp8_fp8 v[12:15], a[44:45], a[20:21], v[12:15]// 000000007BB0: D3F3000C 1C32292C
	ds_read_b128 a[8:11], v2 offset:8960                       // 000000007BB8: DBFE2300 08000002
	ds_read_b128 a[12:15], v2 offset:9024                      // 000000007BC0: DBFE2340 0C000002
	v_mfma_f32_16x16x32_fp8_fp8 v[12:15], a[46:47], a[22:23], v[12:15]// 000000007BC8: D3F3000C 1C322D2E
	v_fma_f32 v80, v8, v4, v80                                 // 000000007BD0: D1CB0050 05420908
	v_fma_f32 v81, v9, v4, v81                                 // 000000007BD8: D1CB0051 05460909
	v_fma_f32 v82, v10, v4, v82                                // 000000007BE0: D1CB0052 054A090A
	v_fma_f32 v83, v11, v4, v83                                // 000000007BE8: D1CB0053 054E090B
	v_mul_f32_dpp v6, v28, v34 row_newbcast:1 row_mask:0xf bank_mask:0xf// 000000007BF0: 0A0C44FA FF01511C
	v_mfma_f32_16x16x32_fp8_fp8 v[8:11], a[48:49], a[16:17], 0 // 000000007BF8: D3F30008 1A022130
	buffer_load_dwordx4 a[104:107], v43, s[84:87], 0 offen     // 000000007C00: E05C1000 8095682B
	v_mfma_f32_16x16x32_fp8_fp8 v[8:11], a[50:51], a[18:19], v[8:11]// 000000007C08: D3F30008 1C222532
	v_mfma_f32_16x16x32_fp8_fp8 v[8:11], a[52:53], a[20:21], v[8:11]// 000000007C10: D3F30008 1C222934
	v_mfma_f32_16x16x32_fp8_fp8 v[8:11], a[54:55], a[22:23], v[8:11]// 000000007C18: D3F30008 1C222D36
	v_fma_f32 v88, v12, v4, v88                                // 000000007C20: D1CB0058 0562090C
	v_fma_f32 v89, v13, v4, v89                                // 000000007C28: D1CB0059 0566090D
	v_fma_f32 v90, v14, v4, v90                                // 000000007C30: D1CB005A 056A090E
	v_fma_f32 v91, v15, v4, v91                                // 000000007C38: D1CB005B 056E090F
	v_mfma_f32_16x16x32_fp8_fp8 v[12:15], a[56:57], a[16:17], 0// 000000007C40: D3F3000C 1A022138
	buffer_load_dwordx4 a[108:111], v43, s[84:87], 0 offen offset:1024// 000000007C48: E05C1400 80956C2B
	v_mfma_f32_16x16x32_fp8_fp8 v[12:15], a[58:59], a[18:19], v[12:15]// 000000007C50: D3F3000C 1C32253A
	v_mfma_f32_16x16x32_fp8_fp8 v[12:15], a[60:61], a[20:21], v[12:15]// 000000007C58: D3F3000C 1C32293C
	v_mfma_f32_16x16x32_fp8_fp8 v[12:15], a[62:63], a[22:23], v[12:15]// 000000007C60: D3F3000C 1C322D3E
	v_fma_f32 v96, v8, v6, v96                                 // 000000007C68: D1CB0060 05820D08
	v_fma_f32 v97, v9, v6, v97                                 // 000000007C70: D1CB0061 05860D09
	v_fma_f32 v98, v10, v6, v98                                // 000000007C78: D1CB0062 058A0D0A
	v_fma_f32 v99, v11, v6, v99                                // 000000007C80: D1CB0063 058E0D0B
	v_mul_f32_dpp v4, v28, v35 row_newbcast:0 row_mask:0xf bank_mask:0xf// 000000007C88: 0A0846FA FF01501C
	v_mfma_f32_16x16x32_fp8_fp8 v[8:11], a[32:33], a[24:25], 0 // 000000007C90: D3F30008 1A023120
	buffer_load_dwordx4 a[112:115], v44, s[84:87], 0 offen     // 000000007C98: E05C1000 8095702C
	v_mfma_f32_16x16x32_fp8_fp8 v[8:11], a[34:35], a[26:27], v[8:11]// 000000007CA0: D3F30008 1C223522
	v_mfma_f32_16x16x32_fp8_fp8 v[8:11], a[36:37], a[28:29], v[8:11]// 000000007CA8: D3F30008 1C223924
	v_mfma_f32_16x16x32_fp8_fp8 v[8:11], a[38:39], a[30:31], v[8:11]// 000000007CB0: D3F30008 1C223D26
	v_fma_f32 v104, v12, v6, v104                              // 000000007CB8: D1CB0068 05A20D0C
	v_fma_f32 v105, v13, v6, v105                              // 000000007CC0: D1CB0069 05A60D0D
	v_fma_f32 v106, v14, v6, v106                              // 000000007CC8: D1CB006A 05AA0D0E
	v_fma_f32 v107, v15, v6, v107                              // 000000007CD0: D1CB006B 05AE0D0F
	v_mfma_f32_16x16x32_fp8_fp8 v[12:15], a[40:41], a[24:25], 0// 000000007CD8: D3F3000C 1A023128
	buffer_load_dwordx4 a[116:119], v44, s[84:87], 0 offen offset:1024// 000000007CE0: E05C1400 8095742C
	v_mfma_f32_16x16x32_fp8_fp8 v[12:15], a[42:43], a[26:27], v[12:15]// 000000007CE8: D3F3000C 1C32352A
	v_mfma_f32_16x16x32_fp8_fp8 v[12:15], a[44:45], a[28:29], v[12:15]// 000000007CF0: D3F3000C 1C32392C
	v_mfma_f32_16x16x32_fp8_fp8 v[12:15], a[46:47], a[30:31], v[12:15]// 000000007CF8: D3F3000C 1C323D2E
	v_fma_f32 v84, v8, v4, v84                                 // 000000007D00: D1CB0054 05520908
	v_fma_f32 v85, v9, v4, v85                                 // 000000007D08: D1CB0055 05560909
	v_fma_f32 v86, v10, v4, v86                                // 000000007D10: D1CB0056 055A090A
	v_fma_f32 v87, v11, v4, v87                                // 000000007D18: D1CB0057 055E090B
	v_mul_f32_dpp v6, v28, v35 row_newbcast:1 row_mask:0xf bank_mask:0xf// 000000007D20: 0A0C46FA FF01511C
	v_mfma_f32_16x16x32_fp8_fp8 v[8:11], a[48:49], a[24:25], 0 // 000000007D28: D3F30008 1A023130
	buffer_load_dwordx4 a[120:123], v45, s[84:87], 0 offen     // 000000007D30: E05C1000 8095782D
	s_add_u32 s60, 0x180, s80                                  // 000000007D38: 803C50FF 00000180
	s_cmp_lt_u32 s60, s81                                      // 000000007D40: BF0A513C
	s_cselect_b32 s57, s57, 0                                  // 000000007D44: 85398039
	s_cselect_b32 s3, s3, 0                                    // 000000007D48: 85038003
	v_mfma_f32_16x16x32_fp8_fp8 v[8:11], a[50:51], a[26:27], v[8:11]// 000000007D4C: D3F30008 1C223532
	s_add_u32 s60, 0x100, s80                                  // 000000007D54: 803C50FF 00000100
	s_cmp_lt_u32 s60, s81                                      // 000000007D5C: BF0A513C
	s_cselect_b32 s58, s58, 0                                  // 000000007D60: 853A803A
	v_mfma_f32_16x16x32_fp8_fp8 v[8:11], a[52:53], a[28:29], v[8:11]// 000000007D64: D3F30008 1C223934
	s_add_u32 s60, 0x100, s80                                  // 000000007D6C: 803C50FF 00000100
	s_cmp_lt_u32 s60, s81                                      // 000000007D74: BF0A513C
	s_cselect_b32 s83, s83, 0                                  // 000000007D78: 85538053
	s_cselect_b32 s4, s4, 0                                    // 000000007D7C: 85048004
	v_mfma_f32_16x16x32_fp8_fp8 v[8:11], a[54:55], a[30:31], v[8:11]// 000000007D80: D3F30008 1C223D36
	s_add_u32 s24, s58, s24                                    // 000000007D88: 8018183A
	s_addc_u32 s25, 0, s25                                     // 000000007D8C: 82191980
	v_fma_f32 v92, v12, v4, v92                                // 000000007D90: D1CB005C 0572090C
	v_fma_f32 v93, v13, v4, v93                                // 000000007D98: D1CB005D 0576090D
	v_fma_f32 v94, v14, v4, v94                                // 000000007DA0: D1CB005E 057A090E
	v_fma_f32 v95, v15, v4, v95                                // 000000007DA8: D1CB005F 057E090F
	v_mfma_f32_16x16x32_fp8_fp8 v[12:15], a[56:57], a[24:25], 0// 000000007DB0: D3F3000C 1A023138
	buffer_load_dwordx4 a[124:127], v45, s[84:87], 0 offen offset:1024// 000000007DB8: E05C1400 80957C2D
	s_add_u32 s20, s57, s20                                    // 000000007DC0: 80141439
	s_addc_u32 s21, 0, s21                                     // 000000007DC4: 82151580
	s_add_u32 s28, s3, s28                                     // 000000007DC8: 801C1C03
	s_addc_u32 s29, 0, s29                                     // 000000007DCC: 821D1D80
	v_mfma_f32_16x16x32_fp8_fp8 v[12:15], a[58:59], a[26:27], v[12:15]// 000000007DD0: D3F3000C 1C32353A
	s_add_u32 s84, s83, s84                                    // 000000007DD8: 80545453
	s_addc_u32 s85, 0, s85                                     // 000000007DDC: 82555580
	v_mfma_f32_16x16x32_fp8_fp8 v[12:15], a[60:61], a[28:29], v[12:15]// 000000007DE0: D3F3000C 1C32393C
	s_add_u32 s32, s4, s32                                     // 000000007DE8: 80202004
	s_addc_u32 s33, 0, s33                                     // 000000007DEC: 82212180
	v_mfma_f32_16x16x32_fp8_fp8 v[12:15], a[62:63], a[30:31], v[12:15]// 000000007DF0: D3F3000C 1C323D3E
	v_fma_f32 v100, v8, v6, v100                               // 000000007DF8: D1CB0064 05920D08
	v_fma_f32 v101, v9, v6, v101                               // 000000007E00: D1CB0065 05960D09
	v_fma_f32 v102, v10, v6, v102                              // 000000007E08: D1CB0066 059A0D0A
	v_fma_f32 v103, v11, v6, v103                              // 000000007E10: D1CB0067 059E0D0B
	v_fma_f32 v108, v12, v6, v108                              // 000000007E18: D1CB006C 05B20D0C
	v_fma_f32 v109, v13, v6, v109                              // 000000007E20: D1CB006D 05B60D0D
	v_fma_f32 v110, v14, v6, v110                              // 000000007E28: D1CB006E 05BA0D0E
	v_fma_f32 v111, v15, v6, v111                              // 000000007E30: D1CB006F 05BE0D0F
	s_addk_i32 s80, 0x80                                       // 000000007E38: B7500080
	s_cmp_lt_i32 s80, s81                                      // 000000007E3C: BF045150
	s_cbranch_scc0 label_1AC9                                  // 000000007E40: BF8405B5
	s_waitcnt vmcnt(15) lgkmcnt(0)                             // 000000007E44: BF8C007F
	v_mul_f32_dpp v4, v26, v36 row_newbcast:0 row_mask:0xf bank_mask:0xf// 000000007E48: 0A0848FA FF01501A
	v_mfma_f32_16x16x32_fp8_fp8 v[8:11], a[64:65], a[0:1], 0   // 000000007E50: D3F30008 1A020140
	buffer_load_dword v24, v22, s[32:35], 0 offen              // 000000007E58: E0501000 80081816
	buffer_load_dwordx4 a[32:35], v42, s[24:27], 0 offen       // 000000007E60: E05C1000 8086202A
	v_mfma_f32_16x16x32_fp8_fp8 v[8:11], a[66:67], a[2:3], v[8:11]// 000000007E68: D3F30008 1C220542
	v_mfma_f32_16x16x32_fp8_fp8 v[8:11], a[68:69], a[4:5], v[8:11]// 000000007E70: D3F30008 1C220944
	v_mfma_f32_16x16x32_fp8_fp8 v[8:11], a[70:71], a[6:7], v[8:11]// 000000007E78: D3F30008 1C220D46
	v_mfma_f32_16x16x32_fp8_fp8 v[12:15], a[72:73], a[0:1], 0  // 000000007E80: D3F3000C 1A020148
	buffer_load_dwordx4 a[36:39], v42, s[24:27], 0 offen offset:1024// 000000007E88: E05C1400 8086242A
	v_mfma_f32_16x16x32_fp8_fp8 v[12:15], a[74:75], a[2:3], v[12:15]// 000000007E90: D3F3000C 1C32054A
	v_mfma_f32_16x16x32_fp8_fp8 v[12:15], a[76:77], a[4:5], v[12:15]// 000000007E98: D3F3000C 1C32094C
	v_mfma_f32_16x16x32_fp8_fp8 v[12:15], a[78:79], a[6:7], v[12:15]// 000000007EA0: D3F3000C 1C320D4E
	v_fma_f32 v48, v8, v4, v48                                 // 000000007EA8: D1CB0030 04C20908
	v_fma_f32 v49, v9, v4, v49                                 // 000000007EB0: D1CB0031 04C60909
	v_fma_f32 v50, v10, v4, v50                                // 000000007EB8: D1CB0032 04CA090A
	v_fma_f32 v51, v11, v4, v51                                // 000000007EC0: D1CB0033 04CE090B
	v_mul_f32_dpp v6, v26, v36 row_newbcast:1 row_mask:0xf bank_mask:0xf// 000000007EC8: 0A0C48FA FF01511A
	v_mfma_f32_16x16x32_fp8_fp8 v[8:11], a[80:81], a[0:1], 0   // 000000007ED0: D3F30008 1A020150
	buffer_load_dwordx4 a[40:43], v43, s[24:27], 0 offen       // 000000007ED8: E05C1000 8086282B
	v_mfma_f32_16x16x32_fp8_fp8 v[8:11], a[82:83], a[2:3], v[8:11]// 000000007EE0: D3F30008 1C220552
	v_mfma_f32_16x16x32_fp8_fp8 v[8:11], a[84:85], a[4:5], v[8:11]// 000000007EE8: D3F30008 1C220954
	v_mfma_f32_16x16x32_fp8_fp8 v[8:11], a[86:87], a[6:7], v[8:11]// 000000007EF0: D3F30008 1C220D56
	v_fma_f32 v56, v12, v4, v56                                // 000000007EF8: D1CB0038 04E2090C
	v_fma_f32 v57, v13, v4, v57                                // 000000007F00: D1CB0039 04E6090D
	v_fma_f32 v58, v14, v4, v58                                // 000000007F08: D1CB003A 04EA090E
	v_fma_f32 v59, v15, v4, v59                                // 000000007F10: D1CB003B 04EE090F
	v_mfma_f32_16x16x32_fp8_fp8 v[12:15], a[88:89], a[0:1], 0  // 000000007F18: D3F3000C 1A020158
	buffer_load_dwordx4 a[44:47], v43, s[24:27], 0 offen offset:1024// 000000007F20: E05C1400 80862C2B
	v_mfma_f32_16x16x32_fp8_fp8 v[12:15], a[90:91], a[2:3], v[12:15]// 000000007F28: D3F3000C 1C32055A
	v_mfma_f32_16x16x32_fp8_fp8 v[12:15], a[92:93], a[4:5], v[12:15]// 000000007F30: D3F3000C 1C32095C
	v_mfma_f32_16x16x32_fp8_fp8 v[12:15], a[94:95], a[6:7], v[12:15]// 000000007F38: D3F3000C 1C320D5E
	v_fma_f32 v64, v8, v6, v64                                 // 000000007F40: D1CB0040 05020D08
	v_fma_f32 v65, v9, v6, v65                                 // 000000007F48: D1CB0041 05060D09
	v_fma_f32 v66, v10, v6, v66                                // 000000007F50: D1CB0042 050A0D0A
	v_fma_f32 v67, v11, v6, v67                                // 000000007F58: D1CB0043 050E0D0B
	v_mul_f32_dpp v4, v26, v37 row_newbcast:0 row_mask:0xf bank_mask:0xf// 000000007F60: 0A084AFA FF01501A
	v_mfma_f32_16x16x32_fp8_fp8 v[8:11], a[64:65], a[8:9], 0   // 000000007F68: D3F30008 1A021140
	buffer_load_dwordx4 a[48:51], v44, s[24:27], 0 offen       // 000000007F70: E05C1000 8086302C
	v_mfma_f32_16x16x32_fp8_fp8 v[8:11], a[66:67], a[10:11], v[8:11]// 000000007F78: D3F30008 1C221542
	v_mfma_f32_16x16x32_fp8_fp8 v[8:11], a[68:69], a[12:13], v[8:11]// 000000007F80: D3F30008 1C221944
	v_mfma_f32_16x16x32_fp8_fp8 v[8:11], a[70:71], a[14:15], v[8:11]// 000000007F88: D3F30008 1C221D46
	v_fma_f32 v72, v12, v6, v72                                // 000000007F90: D1CB0048 05220D0C
	v_fma_f32 v73, v13, v6, v73                                // 000000007F98: D1CB0049 05260D0D
	v_fma_f32 v74, v14, v6, v74                                // 000000007FA0: D1CB004A 052A0D0E
	v_fma_f32 v75, v15, v6, v75                                // 000000007FA8: D1CB004B 052E0D0F
	v_mfma_f32_16x16x32_fp8_fp8 v[12:15], a[72:73], a[8:9], 0  // 000000007FB0: D3F3000C 1A021148
	buffer_load_dwordx4 a[52:55], v44, s[24:27], 0 offen offset:1024// 000000007FB8: E05C1400 8086342C
	v_mfma_f32_16x16x32_fp8_fp8 v[12:15], a[74:75], a[10:11], v[12:15]// 000000007FC0: D3F3000C 1C32154A
	v_mfma_f32_16x16x32_fp8_fp8 v[12:15], a[76:77], a[12:13], v[12:15]// 000000007FC8: D3F3000C 1C32194C
	v_mfma_f32_16x16x32_fp8_fp8 v[12:15], a[78:79], a[14:15], v[12:15]// 000000007FD0: D3F3000C 1C321D4E
	v_fma_f32 v52, v8, v4, v52                                 // 000000007FD8: D1CB0034 04D20908
	v_fma_f32 v53, v9, v4, v53                                 // 000000007FE0: D1CB0035 04D60909
	v_fma_f32 v54, v10, v4, v54                                // 000000007FE8: D1CB0036 04DA090A
	v_fma_f32 v55, v11, v4, v55                                // 000000007FF0: D1CB0037 04DE090B
	v_mul_f32_dpp v6, v26, v37 row_newbcast:1 row_mask:0xf bank_mask:0xf// 000000007FF8: 0A0C4AFA FF01511A
	v_mfma_f32_16x16x32_fp8_fp8 v[8:11], a[80:81], a[8:9], 0   // 000000008000: D3F30008 1A021150
	buffer_load_dwordx4 a[56:59], v45, s[24:27], 0 offen       // 000000008008: E05C1000 8086382D
	v_mfma_f32_16x16x32_fp8_fp8 v[8:11], a[82:83], a[10:11], v[8:11]// 000000008010: D3F30008 1C221552
	v_mfma_f32_16x16x32_fp8_fp8 v[8:11], a[84:85], a[12:13], v[8:11]// 000000008018: D3F30008 1C221954
	v_mfma_f32_16x16x32_fp8_fp8 v[8:11], a[86:87], a[14:15], v[8:11]// 000000008020: D3F30008 1C221D56
	v_fma_f32 v60, v12, v4, v60                                // 000000008028: D1CB003C 04F2090C
	v_fma_f32 v61, v13, v4, v61                                // 000000008030: D1CB003D 04F6090D
	v_fma_f32 v62, v14, v4, v62                                // 000000008038: D1CB003E 04FA090E
	v_fma_f32 v63, v15, v4, v63                                // 000000008040: D1CB003F 04FE090F
	v_mfma_f32_16x16x32_fp8_fp8 v[12:15], a[88:89], a[8:9], 0  // 000000008048: D3F3000C 1A021158
	buffer_load_dwordx4 a[60:63], v45, s[24:27], 0 offen offset:1024// 000000008050: E05C1400 80863C2D
	buffer_load_dword v38, s[20:23], 0 offen lds               // 000000008058: E0511000 80050026
	s_add_u32 m0, 0x100, s49                                   // 000000008060: 807C31FF 00000100
	v_mfma_f32_16x16x32_fp8_fp8 v[12:15], a[90:91], a[10:11], v[12:15]// 000000008068: D3F3000C 1C32155A
	v_mfma_f32_16x16x32_fp8_fp8 v[12:15], a[92:93], a[12:13], v[12:15]// 000000008070: D3F3000C 1C32195C
	buffer_load_dword v39, s[20:23], 0 offen lds               // 000000008078: E0511000 80050027
	s_add_u32 m0, 0x200, s49                                   // 000000008080: 807C31FF 00000200
	v_mfma_f32_16x16x32_fp8_fp8 v[12:15], a[94:95], a[14:15], v[12:15]// 000000008088: D3F3000C 1C321D5E
	v_fma_f32 v68, v8, v6, v68                                 // 000000008090: D1CB0044 05120D08
	v_fma_f32 v69, v9, v6, v69                                 // 000000008098: D1CB0045 05160D09
	v_fma_f32 v70, v10, v6, v70                                // 0000000080A0: D1CB0046 051A0D0A
	v_fma_f32 v71, v11, v6, v71                                // 0000000080A8: D1CB0047 051E0D0B
	v_fma_f32 v76, v12, v6, v76                                // 0000000080B0: D1CB004C 05320D0C
	v_fma_f32 v77, v13, v6, v77                                // 0000000080B8: D1CB004D 05360D0D
	v_fma_f32 v78, v14, v6, v78                                // 0000000080C0: D1CB004E 053A0D0E
	v_fma_f32 v79, v15, v6, v79                                // 0000000080C8: D1CB004F 053E0D0F
	buffer_load_dword v40, s[20:23], 0 offen lds               // 0000000080D0: E0511000 80050028
	s_add_u32 m0, 0x300, s49                                   // 0000000080D8: 807C31FF 00000300
	buffer_load_dword v41, s[20:23], 0 offen lds               // 0000000080E0: E0511000 80050029
	s_add_u32 m0, 0, s50                                       // 0000000080E8: 807C3280
	buffer_load_dword v34, v30, s[28:31], 0 offen              // 0000000080EC: E0501000 8007221E
	buffer_load_dword v35, v31, s[28:31], 0 offen              // 0000000080F4: E0501000 8007231F
	s_waitcnt vmcnt(15)                                        // 0000000080FC: BF8C0F7F
	s_barrier                                                  // 000000008100: BF8A0000
	v_mul_f32_dpp v4, v29, v36 row_newbcast:0 row_mask:0xf bank_mask:0xf// 000000008104: 0A0848FA FF01501D
	v_mfma_f32_16x16x32_fp8_fp8 v[8:11], a[96:97], a[0:1], 0   // 00000000810C: D3F30008 1A020160
	buffer_load_dword v27, v23, s[32:35], 0 offen              // 000000008114: E0501000 80081B17
	buffer_load_dwordx4 a[64:67], v42, s[84:87], 0 offen       // 00000000811C: E05C1000 8095402A
	v_mfma_f32_16x16x32_fp8_fp8 v[8:11], a[98:99], a[2:3], v[8:11]// 000000008124: D3F30008 1C220562
	v_mfma_f32_16x16x32_fp8_fp8 v[8:11], a[100:101], a[4:5], v[8:11]// 00000000812C: D3F30008 1C220964
	ds_read_b128 a[16:19], v2                                  // 000000008134: DBFE0000 10000002
	ds_read_b128 a[20:23], v2 offset:64                        // 00000000813C: DBFE0040 14000002
	v_mfma_f32_16x16x32_fp8_fp8 v[8:11], a[102:103], a[6:7], v[8:11]// 000000008144: D3F30008 1C220D66
	v_mfma_f32_16x16x32_fp8_fp8 v[12:15], a[104:105], a[0:1], 0// 00000000814C: D3F3000C 1A020168
	buffer_load_dwordx4 a[68:71], v42, s[84:87], 0 offen offset:1024// 000000008154: E05C1400 8095442A
	v_mfma_f32_16x16x32_fp8_fp8 v[12:15], a[106:107], a[2:3], v[12:15]// 00000000815C: D3F3000C 1C32056A
	v_mfma_f32_16x16x32_fp8_fp8 v[12:15], a[108:109], a[4:5], v[12:15]// 000000008164: D3F3000C 1C32096C
	ds_read_b128 a[24:27], v2 offset:512                       // 00000000816C: DBFE0200 18000002
	ds_read_b128 a[28:31], v2 offset:576                       // 000000008174: DBFE0240 1C000002
	v_mfma_f32_16x16x32_fp8_fp8 v[12:15], a[110:111], a[6:7], v[12:15]// 00000000817C: D3F3000C 1C320D6E
	v_fma_f32 v80, v8, v4, v80                                 // 000000008184: D1CB0050 05420908
	v_fma_f32 v81, v9, v4, v81                                 // 00000000818C: D1CB0051 05460909
	v_fma_f32 v82, v10, v4, v82                                // 000000008194: D1CB0052 054A090A
	v_fma_f32 v83, v11, v4, v83                                // 00000000819C: D1CB0053 054E090B
	v_mul_f32_dpp v6, v29, v36 row_newbcast:1 row_mask:0xf bank_mask:0xf// 0000000081A4: 0A0C48FA FF01511D
	v_mfma_f32_16x16x32_fp8_fp8 v[8:11], a[112:113], a[0:1], 0 // 0000000081AC: D3F30008 1A020170
	buffer_load_dwordx4 a[72:75], v43, s[84:87], 0 offen       // 0000000081B4: E05C1000 8095482B
	v_mfma_f32_16x16x32_fp8_fp8 v[8:11], a[114:115], a[2:3], v[8:11]// 0000000081BC: D3F30008 1C220572
	v_mfma_f32_16x16x32_fp8_fp8 v[8:11], a[116:117], a[4:5], v[8:11]// 0000000081C4: D3F30008 1C220974
	v_mfma_f32_16x16x32_fp8_fp8 v[8:11], a[118:119], a[6:7], v[8:11]// 0000000081CC: D3F30008 1C220D76
	v_fma_f32 v88, v12, v4, v88                                // 0000000081D4: D1CB0058 0562090C
	v_fma_f32 v89, v13, v4, v89                                // 0000000081DC: D1CB0059 0566090D
	v_fma_f32 v90, v14, v4, v90                                // 0000000081E4: D1CB005A 056A090E
	v_fma_f32 v91, v15, v4, v91                                // 0000000081EC: D1CB005B 056E090F
	v_mfma_f32_16x16x32_fp8_fp8 v[12:15], a[120:121], a[0:1], 0// 0000000081F4: D3F3000C 1A020178
	buffer_load_dwordx4 a[76:79], v43, s[84:87], 0 offen offset:1024// 0000000081FC: E05C1400 80954C2B
	v_mfma_f32_16x16x32_fp8_fp8 v[12:15], a[122:123], a[2:3], v[12:15]// 000000008204: D3F3000C 1C32057A
	v_mfma_f32_16x16x32_fp8_fp8 v[12:15], a[124:125], a[4:5], v[12:15]// 00000000820C: D3F3000C 1C32097C
	v_mfma_f32_16x16x32_fp8_fp8 v[12:15], a[126:127], a[6:7], v[12:15]// 000000008214: D3F3000C 1C320D7E
	v_fma_f32 v96, v8, v6, v96                                 // 00000000821C: D1CB0060 05820D08
	v_fma_f32 v97, v9, v6, v97                                 // 000000008224: D1CB0061 05860D09
	v_fma_f32 v98, v10, v6, v98                                // 00000000822C: D1CB0062 058A0D0A
	v_fma_f32 v99, v11, v6, v99                                // 000000008234: D1CB0063 058E0D0B
	v_mul_f32_dpp v4, v29, v37 row_newbcast:0 row_mask:0xf bank_mask:0xf// 00000000823C: 0A084AFA FF01501D
	v_mfma_f32_16x16x32_fp8_fp8 v[8:11], a[96:97], a[8:9], 0   // 000000008244: D3F30008 1A021160
	buffer_load_dwordx4 a[80:83], v44, s[84:87], 0 offen       // 00000000824C: E05C1000 8095502C
	v_mfma_f32_16x16x32_fp8_fp8 v[8:11], a[98:99], a[10:11], v[8:11]// 000000008254: D3F30008 1C221562
	v_mfma_f32_16x16x32_fp8_fp8 v[8:11], a[100:101], a[12:13], v[8:11]// 00000000825C: D3F30008 1C221964
	v_mfma_f32_16x16x32_fp8_fp8 v[8:11], a[102:103], a[14:15], v[8:11]// 000000008264: D3F30008 1C221D66
	v_fma_f32 v104, v12, v6, v104                              // 00000000826C: D1CB0068 05A20D0C
	v_fma_f32 v105, v13, v6, v105                              // 000000008274: D1CB0069 05A60D0D
	v_fma_f32 v106, v14, v6, v106                              // 00000000827C: D1CB006A 05AA0D0E
	v_fma_f32 v107, v15, v6, v107                              // 000000008284: D1CB006B 05AE0D0F
	v_mfma_f32_16x16x32_fp8_fp8 v[12:15], a[104:105], a[8:9], 0// 00000000828C: D3F3000C 1A021168
	buffer_load_dwordx4 a[84:87], v44, s[84:87], 0 offen offset:1024// 000000008294: E05C1400 8095542C
	v_mfma_f32_16x16x32_fp8_fp8 v[12:15], a[106:107], a[10:11], v[12:15]// 00000000829C: D3F3000C 1C32156A
	v_mfma_f32_16x16x32_fp8_fp8 v[12:15], a[108:109], a[12:13], v[12:15]// 0000000082A4: D3F3000C 1C32196C
	v_mfma_f32_16x16x32_fp8_fp8 v[12:15], a[110:111], a[14:15], v[12:15]// 0000000082AC: D3F3000C 1C321D6E
	v_fma_f32 v84, v8, v4, v84                                 // 0000000082B4: D1CB0054 05520908
	v_fma_f32 v85, v9, v4, v85                                 // 0000000082BC: D1CB0055 05560909
	v_fma_f32 v86, v10, v4, v86                                // 0000000082C4: D1CB0056 055A090A
	v_fma_f32 v87, v11, v4, v87                                // 0000000082CC: D1CB0057 055E090B
	v_mul_f32_dpp v6, v29, v37 row_newbcast:1 row_mask:0xf bank_mask:0xf// 0000000082D4: 0A0C4AFA FF01511D
	v_mfma_f32_16x16x32_fp8_fp8 v[8:11], a[112:113], a[8:9], 0 // 0000000082DC: D3F30008 1A021170
	buffer_load_dwordx4 a[88:91], v45, s[84:87], 0 offen       // 0000000082E4: E05C1000 8095582D
	s_add_u32 s60, 0x180, s80                                  // 0000000082EC: 803C50FF 00000180
	s_cmp_lt_u32 s60, s81                                      // 0000000082F4: BF0A513C
	s_cselect_b32 s57, s57, 0                                  // 0000000082F8: 85398039
	s_cselect_b32 s3, s3, 0                                    // 0000000082FC: 85038003
	v_mfma_f32_16x16x32_fp8_fp8 v[8:11], a[114:115], a[10:11], v[8:11]// 000000008300: D3F30008 1C221572
	s_add_u32 s60, 0x100, s80                                  // 000000008308: 803C50FF 00000100
	s_cmp_lt_u32 s60, s81                                      // 000000008310: BF0A513C
	s_cselect_b32 s58, s58, 0                                  // 000000008314: 853A803A
	v_mfma_f32_16x16x32_fp8_fp8 v[8:11], a[116:117], a[12:13], v[8:11]// 000000008318: D3F30008 1C221974
	s_add_u32 s60, 0x100, s80                                  // 000000008320: 803C50FF 00000100
	s_cmp_lt_u32 s60, s81                                      // 000000008328: BF0A513C
	s_cselect_b32 s83, s83, 0                                  // 00000000832C: 85538053
	s_cselect_b32 s4, s4, 0                                    // 000000008330: 85048004
	v_mfma_f32_16x16x32_fp8_fp8 v[8:11], a[118:119], a[14:15], v[8:11]// 000000008334: D3F30008 1C221D76
	s_add_u32 s24, s58, s24                                    // 00000000833C: 8018183A
	s_addc_u32 s25, 0, s25                                     // 000000008340: 82191980
	v_fma_f32 v92, v12, v4, v92                                // 000000008344: D1CB005C 0572090C
	v_fma_f32 v93, v13, v4, v93                                // 00000000834C: D1CB005D 0576090D
	v_fma_f32 v94, v14, v4, v94                                // 000000008354: D1CB005E 057A090E
	v_fma_f32 v95, v15, v4, v95                                // 00000000835C: D1CB005F 057E090F
	v_mfma_f32_16x16x32_fp8_fp8 v[12:15], a[120:121], a[8:9], 0// 000000008364: D3F3000C 1A021178
	buffer_load_dwordx4 a[92:95], v45, s[84:87], 0 offen offset:1024// 00000000836C: E05C1400 80955C2D
	s_add_u32 s20, s57, s20                                    // 000000008374: 80141439
	s_addc_u32 s21, 0, s21                                     // 000000008378: 82151580
	s_add_u32 s28, s3, s28                                     // 00000000837C: 801C1C03
	s_addc_u32 s29, 0, s29                                     // 000000008380: 821D1D80
	v_mfma_f32_16x16x32_fp8_fp8 v[12:15], a[122:123], a[10:11], v[12:15]// 000000008384: D3F3000C 1C32157A
	s_add_u32 s84, s83, s84                                    // 00000000838C: 80545453
	s_addc_u32 s85, 0, s85                                     // 000000008390: 82555580
	v_mfma_f32_16x16x32_fp8_fp8 v[12:15], a[124:125], a[12:13], v[12:15]// 000000008394: D3F3000C 1C32197C
	s_add_u32 s32, s4, s32                                     // 00000000839C: 80202004
	s_addc_u32 s33, 0, s33                                     // 0000000083A0: 82212180
	v_mfma_f32_16x16x32_fp8_fp8 v[12:15], a[126:127], a[14:15], v[12:15]// 0000000083A4: D3F3000C 1C321D7E
	v_fma_f32 v100, v8, v6, v100                               // 0000000083AC: D1CB0064 05920D08
	v_fma_f32 v101, v9, v6, v101                               // 0000000083B4: D1CB0065 05960D09
	v_fma_f32 v102, v10, v6, v102                              // 0000000083BC: D1CB0066 059A0D0A
	v_fma_f32 v103, v11, v6, v103                              // 0000000083C4: D1CB0067 059E0D0B
	v_fma_f32 v108, v12, v6, v108                              // 0000000083CC: D1CB006C 05B20D0C
	v_fma_f32 v109, v13, v6, v109                              // 0000000083D4: D1CB006D 05B60D0D
	v_fma_f32 v110, v14, v6, v110                              // 0000000083DC: D1CB006E 05BA0D0E
	v_fma_f32 v111, v15, v6, v111                              // 0000000083E4: D1CB006F 05BE0D0F
	s_addk_i32 s80, 0x80                                       // 0000000083EC: B7500080
	s_cmp_lt_i32 s80, s81                                      // 0000000083F0: BF045150
	s_cbranch_scc0 label_1AC9                                  // 0000000083F4: BF840448
	s_waitcnt vmcnt(15) lgkmcnt(0)                             // 0000000083F8: BF8C007F
	v_mul_f32_dpp v4, v24, v32 row_newbcast:0 row_mask:0xf bank_mask:0xf// 0000000083FC: 0A0840FA FF015018
	v_mfma_f32_16x16x32_fp8_fp8 v[8:11], a[32:33], a[16:17], 0 // 000000008404: D3F30008 1A022120
	buffer_load_dword v25, v22, s[32:35], 0 offen              // 00000000840C: E0501000 80081916
	buffer_load_dwordx4 a[96:99], v42, s[24:27], 0 offen       // 000000008414: E05C1000 8086602A
	v_mfma_f32_16x16x32_fp8_fp8 v[8:11], a[34:35], a[18:19], v[8:11]// 00000000841C: D3F30008 1C222522
	v_mfma_f32_16x16x32_fp8_fp8 v[8:11], a[36:37], a[20:21], v[8:11]// 000000008424: D3F30008 1C222924
	v_mfma_f32_16x16x32_fp8_fp8 v[8:11], a[38:39], a[22:23], v[8:11]// 00000000842C: D3F30008 1C222D26
	v_mfma_f32_16x16x32_fp8_fp8 v[12:15], a[40:41], a[16:17], 0// 000000008434: D3F3000C 1A022128
	buffer_load_dwordx4 a[100:103], v42, s[24:27], 0 offen offset:1024// 00000000843C: E05C1400 8086642A
	v_mfma_f32_16x16x32_fp8_fp8 v[12:15], a[42:43], a[18:19], v[12:15]// 000000008444: D3F3000C 1C32252A
	v_mfma_f32_16x16x32_fp8_fp8 v[12:15], a[44:45], a[20:21], v[12:15]// 00000000844C: D3F3000C 1C32292C
	v_mfma_f32_16x16x32_fp8_fp8 v[12:15], a[46:47], a[22:23], v[12:15]// 000000008454: D3F3000C 1C322D2E
	v_fma_f32 v48, v8, v4, v48                                 // 00000000845C: D1CB0030 04C20908
	v_fma_f32 v49, v9, v4, v49                                 // 000000008464: D1CB0031 04C60909
	v_fma_f32 v50, v10, v4, v50                                // 00000000846C: D1CB0032 04CA090A
	v_fma_f32 v51, v11, v4, v51                                // 000000008474: D1CB0033 04CE090B
	v_mul_f32_dpp v6, v24, v32 row_newbcast:1 row_mask:0xf bank_mask:0xf// 00000000847C: 0A0C40FA FF015118
	v_mfma_f32_16x16x32_fp8_fp8 v[8:11], a[48:49], a[16:17], 0 // 000000008484: D3F30008 1A022130
	buffer_load_dwordx4 a[104:107], v43, s[24:27], 0 offen     // 00000000848C: E05C1000 8086682B
	v_mfma_f32_16x16x32_fp8_fp8 v[8:11], a[50:51], a[18:19], v[8:11]// 000000008494: D3F30008 1C222532
	v_mfma_f32_16x16x32_fp8_fp8 v[8:11], a[52:53], a[20:21], v[8:11]// 00000000849C: D3F30008 1C222934
	v_mfma_f32_16x16x32_fp8_fp8 v[8:11], a[54:55], a[22:23], v[8:11]// 0000000084A4: D3F30008 1C222D36
	v_fma_f32 v56, v12, v4, v56                                // 0000000084AC: D1CB0038 04E2090C
	v_fma_f32 v57, v13, v4, v57                                // 0000000084B4: D1CB0039 04E6090D
	v_fma_f32 v58, v14, v4, v58                                // 0000000084BC: D1CB003A 04EA090E
	v_fma_f32 v59, v15, v4, v59                                // 0000000084C4: D1CB003B 04EE090F
	v_mfma_f32_16x16x32_fp8_fp8 v[12:15], a[56:57], a[16:17], 0// 0000000084CC: D3F3000C 1A022138
	buffer_load_dwordx4 a[108:111], v43, s[24:27], 0 offen offset:1024// 0000000084D4: E05C1400 80866C2B
	v_mfma_f32_16x16x32_fp8_fp8 v[12:15], a[58:59], a[18:19], v[12:15]// 0000000084DC: D3F3000C 1C32253A
	v_mfma_f32_16x16x32_fp8_fp8 v[12:15], a[60:61], a[20:21], v[12:15]// 0000000084E4: D3F3000C 1C32293C
	v_mfma_f32_16x16x32_fp8_fp8 v[12:15], a[62:63], a[22:23], v[12:15]// 0000000084EC: D3F3000C 1C322D3E
	v_fma_f32 v64, v8, v6, v64                                 // 0000000084F4: D1CB0040 05020D08
	v_fma_f32 v65, v9, v6, v65                                 // 0000000084FC: D1CB0041 05060D09
	v_fma_f32 v66, v10, v6, v66                                // 000000008504: D1CB0042 050A0D0A
	v_fma_f32 v67, v11, v6, v67                                // 00000000850C: D1CB0043 050E0D0B
	v_mul_f32_dpp v4, v24, v33 row_newbcast:0 row_mask:0xf bank_mask:0xf// 000000008514: 0A0842FA FF015018
	v_mfma_f32_16x16x32_fp8_fp8 v[8:11], a[32:33], a[24:25], 0 // 00000000851C: D3F30008 1A023120
	buffer_load_dwordx4 a[112:115], v44, s[24:27], 0 offen     // 000000008524: E05C1000 8086702C
	v_mfma_f32_16x16x32_fp8_fp8 v[8:11], a[34:35], a[26:27], v[8:11]// 00000000852C: D3F30008 1C223522
	v_mfma_f32_16x16x32_fp8_fp8 v[8:11], a[36:37], a[28:29], v[8:11]// 000000008534: D3F30008 1C223924
	v_mfma_f32_16x16x32_fp8_fp8 v[8:11], a[38:39], a[30:31], v[8:11]// 00000000853C: D3F30008 1C223D26
	v_fma_f32 v72, v12, v6, v72                                // 000000008544: D1CB0048 05220D0C
	v_fma_f32 v73, v13, v6, v73                                // 00000000854C: D1CB0049 05260D0D
	v_fma_f32 v74, v14, v6, v74                                // 000000008554: D1CB004A 052A0D0E
	v_fma_f32 v75, v15, v6, v75                                // 00000000855C: D1CB004B 052E0D0F
	v_mfma_f32_16x16x32_fp8_fp8 v[12:15], a[40:41], a[24:25], 0// 000000008564: D3F3000C 1A023128
	buffer_load_dwordx4 a[116:119], v44, s[24:27], 0 offen offset:1024// 00000000856C: E05C1400 8086742C
	v_mfma_f32_16x16x32_fp8_fp8 v[12:15], a[42:43], a[26:27], v[12:15]// 000000008574: D3F3000C 1C32352A
	v_mfma_f32_16x16x32_fp8_fp8 v[12:15], a[44:45], a[28:29], v[12:15]// 00000000857C: D3F3000C 1C32392C
	v_mfma_f32_16x16x32_fp8_fp8 v[12:15], a[46:47], a[30:31], v[12:15]// 000000008584: D3F3000C 1C323D2E
	v_fma_f32 v52, v8, v4, v52                                 // 00000000858C: D1CB0034 04D20908
	v_fma_f32 v53, v9, v4, v53                                 // 000000008594: D1CB0035 04D60909
	v_fma_f32 v54, v10, v4, v54                                // 00000000859C: D1CB0036 04DA090A
	v_fma_f32 v55, v11, v4, v55                                // 0000000085A4: D1CB0037 04DE090B
	v_mul_f32_dpp v6, v24, v33 row_newbcast:1 row_mask:0xf bank_mask:0xf// 0000000085AC: 0A0C42FA FF015118
	v_mfma_f32_16x16x32_fp8_fp8 v[8:11], a[48:49], a[24:25], 0 // 0000000085B4: D3F30008 1A023130
	buffer_load_dwordx4 a[120:123], v45, s[24:27], 0 offen     // 0000000085BC: E05C1000 8086782D
	v_mfma_f32_16x16x32_fp8_fp8 v[8:11], a[50:51], a[26:27], v[8:11]// 0000000085C4: D3F30008 1C223532
	v_mfma_f32_16x16x32_fp8_fp8 v[8:11], a[52:53], a[28:29], v[8:11]// 0000000085CC: D3F30008 1C223934
	v_mfma_f32_16x16x32_fp8_fp8 v[8:11], a[54:55], a[30:31], v[8:11]// 0000000085D4: D3F30008 1C223D36
	v_fma_f32 v60, v12, v4, v60                                // 0000000085DC: D1CB003C 04F2090C
	v_fma_f32 v61, v13, v4, v61                                // 0000000085E4: D1CB003D 04F6090D
	v_fma_f32 v62, v14, v4, v62                                // 0000000085EC: D1CB003E 04FA090E
	v_fma_f32 v63, v15, v4, v63                                // 0000000085F4: D1CB003F 04FE090F
	v_mfma_f32_16x16x32_fp8_fp8 v[12:15], a[56:57], a[24:25], 0// 0000000085FC: D3F3000C 1A023138
	buffer_load_dwordx4 a[124:127], v45, s[24:27], 0 offen offset:1024// 000000008604: E05C1400 80867C2D
	buffer_load_dword v38, s[20:23], 0 offen lds               // 00000000860C: E0511000 80050026
	s_add_u32 m0, 0x100, s50                                   // 000000008614: 807C32FF 00000100
	v_mfma_f32_16x16x32_fp8_fp8 v[12:15], a[58:59], a[26:27], v[12:15]// 00000000861C: D3F3000C 1C32353A
	v_mfma_f32_16x16x32_fp8_fp8 v[12:15], a[60:61], a[28:29], v[12:15]// 000000008624: D3F3000C 1C32393C
	buffer_load_dword v39, s[20:23], 0 offen lds               // 00000000862C: E0511000 80050027
	s_add_u32 m0, 0x200, s50                                   // 000000008634: 807C32FF 00000200
	v_mfma_f32_16x16x32_fp8_fp8 v[12:15], a[62:63], a[30:31], v[12:15]// 00000000863C: D3F3000C 1C323D3E
	v_fma_f32 v68, v8, v6, v68                                 // 000000008644: D1CB0044 05120D08
	v_fma_f32 v69, v9, v6, v69                                 // 00000000864C: D1CB0045 05160D09
	v_fma_f32 v70, v10, v6, v70                                // 000000008654: D1CB0046 051A0D0A
	v_fma_f32 v71, v11, v6, v71                                // 00000000865C: D1CB0047 051E0D0B
	v_fma_f32 v76, v12, v6, v76                                // 000000008664: D1CB004C 05320D0C
	v_fma_f32 v77, v13, v6, v77                                // 00000000866C: D1CB004D 05360D0D
	v_fma_f32 v78, v14, v6, v78                                // 000000008674: D1CB004E 053A0D0E
	v_fma_f32 v79, v15, v6, v79                                // 00000000867C: D1CB004F 053E0D0F
	buffer_load_dword v40, s[20:23], 0 offen lds               // 000000008684: E0511000 80050028
	s_add_u32 m0, 0x300, s50                                   // 00000000868C: 807C32FF 00000300
	buffer_load_dword v41, s[20:23], 0 offen lds               // 000000008694: E0511000 80050029
	s_add_u32 m0, 0, s48                                       // 00000000869C: 807C3080
	buffer_load_dword v36, v30, s[28:31], 0 offen              // 0000000086A0: E0501000 8007241E
	buffer_load_dword v37, v31, s[28:31], 0 offen              // 0000000086A8: E0501000 8007251F
	s_waitcnt vmcnt(15)                                        // 0000000086B0: BF8C0F7F
	s_barrier                                                  // 0000000086B4: BF8A0000
	v_mul_f32_dpp v4, v27, v32 row_newbcast:0 row_mask:0xf bank_mask:0xf// 0000000086B8: 0A0840FA FF01501B
	v_mfma_f32_16x16x32_fp8_fp8 v[8:11], a[64:65], a[16:17], 0 // 0000000086C0: D3F30008 1A022140
	buffer_load_dword v28, v23, s[32:35], 0 offen              // 0000000086C8: E0501000 80081C17
	buffer_load_dwordx4 a[32:35], v42, s[84:87], 0 offen       // 0000000086D0: E05C1000 8095202A
	v_mfma_f32_16x16x32_fp8_fp8 v[8:11], a[66:67], a[18:19], v[8:11]// 0000000086D8: D3F30008 1C222542
	v_mfma_f32_16x16x32_fp8_fp8 v[8:11], a[68:69], a[20:21], v[8:11]// 0000000086E0: D3F30008 1C222944
	ds_read_b128 a[0:3], v2 offset:4224                        // 0000000086E8: DBFE1080 00000002
	ds_read_b128 a[4:7], v2 offset:4288                        // 0000000086F0: DBFE10C0 04000002
	v_mfma_f32_16x16x32_fp8_fp8 v[8:11], a[70:71], a[22:23], v[8:11]// 0000000086F8: D3F30008 1C222D46
	v_mfma_f32_16x16x32_fp8_fp8 v[12:15], a[72:73], a[16:17], 0// 000000008700: D3F3000C 1A022148
	buffer_load_dwordx4 a[36:39], v42, s[84:87], 0 offen offset:1024// 000000008708: E05C1400 8095242A
	v_mfma_f32_16x16x32_fp8_fp8 v[12:15], a[74:75], a[18:19], v[12:15]// 000000008710: D3F3000C 1C32254A
	v_mfma_f32_16x16x32_fp8_fp8 v[12:15], a[76:77], a[20:21], v[12:15]// 000000008718: D3F3000C 1C32294C
	ds_read_b128 a[8:11], v2 offset:4736                       // 000000008720: DBFE1280 08000002
	ds_read_b128 a[12:15], v2 offset:4800                      // 000000008728: DBFE12C0 0C000002
	v_mfma_f32_16x16x32_fp8_fp8 v[12:15], a[78:79], a[22:23], v[12:15]// 000000008730: D3F3000C 1C322D4E
	v_fma_f32 v80, v8, v4, v80                                 // 000000008738: D1CB0050 05420908
	v_fma_f32 v81, v9, v4, v81                                 // 000000008740: D1CB0051 05460909
	v_fma_f32 v82, v10, v4, v82                                // 000000008748: D1CB0052 054A090A
	v_fma_f32 v83, v11, v4, v83                                // 000000008750: D1CB0053 054E090B
	v_mul_f32_dpp v6, v27, v32 row_newbcast:1 row_mask:0xf bank_mask:0xf// 000000008758: 0A0C40FA FF01511B
	v_mfma_f32_16x16x32_fp8_fp8 v[8:11], a[80:81], a[16:17], 0 // 000000008760: D3F30008 1A022150
	buffer_load_dwordx4 a[40:43], v43, s[84:87], 0 offen       // 000000008768: E05C1000 8095282B
	v_mfma_f32_16x16x32_fp8_fp8 v[8:11], a[82:83], a[18:19], v[8:11]// 000000008770: D3F30008 1C222552
	v_mfma_f32_16x16x32_fp8_fp8 v[8:11], a[84:85], a[20:21], v[8:11]// 000000008778: D3F30008 1C222954
	v_mfma_f32_16x16x32_fp8_fp8 v[8:11], a[86:87], a[22:23], v[8:11]// 000000008780: D3F30008 1C222D56
	v_fma_f32 v88, v12, v4, v88                                // 000000008788: D1CB0058 0562090C
	v_fma_f32 v89, v13, v4, v89                                // 000000008790: D1CB0059 0566090D
	v_fma_f32 v90, v14, v4, v90                                // 000000008798: D1CB005A 056A090E
	v_fma_f32 v91, v15, v4, v91                                // 0000000087A0: D1CB005B 056E090F
	v_mfma_f32_16x16x32_fp8_fp8 v[12:15], a[88:89], a[16:17], 0// 0000000087A8: D3F3000C 1A022158
	buffer_load_dwordx4 a[44:47], v43, s[84:87], 0 offen offset:1024// 0000000087B0: E05C1400 80952C2B
	v_mfma_f32_16x16x32_fp8_fp8 v[12:15], a[90:91], a[18:19], v[12:15]// 0000000087B8: D3F3000C 1C32255A
	v_mfma_f32_16x16x32_fp8_fp8 v[12:15], a[92:93], a[20:21], v[12:15]// 0000000087C0: D3F3000C 1C32295C
	v_mfma_f32_16x16x32_fp8_fp8 v[12:15], a[94:95], a[22:23], v[12:15]// 0000000087C8: D3F3000C 1C322D5E
	v_fma_f32 v96, v8, v6, v96                                 // 0000000087D0: D1CB0060 05820D08
	v_fma_f32 v97, v9, v6, v97                                 // 0000000087D8: D1CB0061 05860D09
	v_fma_f32 v98, v10, v6, v98                                // 0000000087E0: D1CB0062 058A0D0A
	v_fma_f32 v99, v11, v6, v99                                // 0000000087E8: D1CB0063 058E0D0B
	v_mul_f32_dpp v4, v27, v33 row_newbcast:0 row_mask:0xf bank_mask:0xf// 0000000087F0: 0A0842FA FF01501B
	v_mfma_f32_16x16x32_fp8_fp8 v[8:11], a[64:65], a[24:25], 0 // 0000000087F8: D3F30008 1A023140
	buffer_load_dwordx4 a[48:51], v44, s[84:87], 0 offen       // 000000008800: E05C1000 8095302C
	v_mfma_f32_16x16x32_fp8_fp8 v[8:11], a[66:67], a[26:27], v[8:11]// 000000008808: D3F30008 1C223542
	v_mfma_f32_16x16x32_fp8_fp8 v[8:11], a[68:69], a[28:29], v[8:11]// 000000008810: D3F30008 1C223944
	v_mfma_f32_16x16x32_fp8_fp8 v[8:11], a[70:71], a[30:31], v[8:11]// 000000008818: D3F30008 1C223D46
	v_fma_f32 v104, v12, v6, v104                              // 000000008820: D1CB0068 05A20D0C
	v_fma_f32 v105, v13, v6, v105                              // 000000008828: D1CB0069 05A60D0D
	v_fma_f32 v106, v14, v6, v106                              // 000000008830: D1CB006A 05AA0D0E
	v_fma_f32 v107, v15, v6, v107                              // 000000008838: D1CB006B 05AE0D0F
	v_mfma_f32_16x16x32_fp8_fp8 v[12:15], a[72:73], a[24:25], 0// 000000008840: D3F3000C 1A023148
	buffer_load_dwordx4 a[52:55], v44, s[84:87], 0 offen offset:1024// 000000008848: E05C1400 8095342C
	v_mfma_f32_16x16x32_fp8_fp8 v[12:15], a[74:75], a[26:27], v[12:15]// 000000008850: D3F3000C 1C32354A
	v_mfma_f32_16x16x32_fp8_fp8 v[12:15], a[76:77], a[28:29], v[12:15]// 000000008858: D3F3000C 1C32394C
	v_mfma_f32_16x16x32_fp8_fp8 v[12:15], a[78:79], a[30:31], v[12:15]// 000000008860: D3F3000C 1C323D4E
	v_fma_f32 v84, v8, v4, v84                                 // 000000008868: D1CB0054 05520908
	v_fma_f32 v85, v9, v4, v85                                 // 000000008870: D1CB0055 05560909
	v_fma_f32 v86, v10, v4, v86                                // 000000008878: D1CB0056 055A090A
	v_fma_f32 v87, v11, v4, v87                                // 000000008880: D1CB0057 055E090B
	v_mul_f32_dpp v6, v27, v33 row_newbcast:1 row_mask:0xf bank_mask:0xf// 000000008888: 0A0C42FA FF01511B
	v_mfma_f32_16x16x32_fp8_fp8 v[8:11], a[80:81], a[24:25], 0 // 000000008890: D3F30008 1A023150
	buffer_load_dwordx4 a[56:59], v45, s[84:87], 0 offen       // 000000008898: E05C1000 8095382D
	s_add_u32 s60, 0x180, s80                                  // 0000000088A0: 803C50FF 00000180
	s_cmp_lt_u32 s60, s81                                      // 0000000088A8: BF0A513C
	s_cselect_b32 s57, s57, 0                                  // 0000000088AC: 85398039
	s_cselect_b32 s3, s3, 0                                    // 0000000088B0: 85038003
	v_mfma_f32_16x16x32_fp8_fp8 v[8:11], a[82:83], a[26:27], v[8:11]// 0000000088B4: D3F30008 1C223552
	s_add_u32 s60, 0x100, s80                                  // 0000000088BC: 803C50FF 00000100
	s_cmp_lt_u32 s60, s81                                      // 0000000088C4: BF0A513C
	s_cselect_b32 s58, s58, 0                                  // 0000000088C8: 853A803A
	v_mfma_f32_16x16x32_fp8_fp8 v[8:11], a[84:85], a[28:29], v[8:11]// 0000000088CC: D3F30008 1C223954
	s_add_u32 s60, 0x100, s80                                  // 0000000088D4: 803C50FF 00000100
	s_cmp_lt_u32 s60, s81                                      // 0000000088DC: BF0A513C
	s_cselect_b32 s83, s83, 0                                  // 0000000088E0: 85538053
	s_cselect_b32 s4, s4, 0                                    // 0000000088E4: 85048004
	v_mfma_f32_16x16x32_fp8_fp8 v[8:11], a[86:87], a[30:31], v[8:11]// 0000000088E8: D3F30008 1C223D56
	s_add_u32 s24, s58, s24                                    // 0000000088F0: 8018183A
	s_addc_u32 s25, 0, s25                                     // 0000000088F4: 82191980
	v_fma_f32 v92, v12, v4, v92                                // 0000000088F8: D1CB005C 0572090C
	v_fma_f32 v93, v13, v4, v93                                // 000000008900: D1CB005D 0576090D
	v_fma_f32 v94, v14, v4, v94                                // 000000008908: D1CB005E 057A090E
	v_fma_f32 v95, v15, v4, v95                                // 000000008910: D1CB005F 057E090F
	v_mfma_f32_16x16x32_fp8_fp8 v[12:15], a[88:89], a[24:25], 0// 000000008918: D3F3000C 1A023158
	buffer_load_dwordx4 a[60:63], v45, s[84:87], 0 offen offset:1024// 000000008920: E05C1400 80953C2D
	s_add_u32 s20, s57, s20                                    // 000000008928: 80141439
	s_addc_u32 s21, 0, s21                                     // 00000000892C: 82151580
	s_add_u32 s28, s3, s28                                     // 000000008930: 801C1C03
	s_addc_u32 s29, 0, s29                                     // 000000008934: 821D1D80
	v_mfma_f32_16x16x32_fp8_fp8 v[12:15], a[90:91], a[26:27], v[12:15]// 000000008938: D3F3000C 1C32355A
	s_add_u32 s84, s83, s84                                    // 000000008940: 80545453
	s_addc_u32 s85, 0, s85                                     // 000000008944: 82555580
	v_mfma_f32_16x16x32_fp8_fp8 v[12:15], a[92:93], a[28:29], v[12:15]// 000000008948: D3F3000C 1C32395C
	s_add_u32 s32, s4, s32                                     // 000000008950: 80202004
	s_addc_u32 s33, 0, s33                                     // 000000008954: 82212180
	v_mfma_f32_16x16x32_fp8_fp8 v[12:15], a[94:95], a[30:31], v[12:15]// 000000008958: D3F3000C 1C323D5E
	v_fma_f32 v100, v8, v6, v100                               // 000000008960: D1CB0064 05920D08
	v_fma_f32 v101, v9, v6, v101                               // 000000008968: D1CB0065 05960D09
	v_fma_f32 v102, v10, v6, v102                              // 000000008970: D1CB0066 059A0D0A
	v_fma_f32 v103, v11, v6, v103                              // 000000008978: D1CB0067 059E0D0B
	v_fma_f32 v108, v12, v6, v108                              // 000000008980: D1CB006C 05B20D0C
	v_fma_f32 v109, v13, v6, v109                              // 000000008988: D1CB006D 05B60D0D
	v_fma_f32 v110, v14, v6, v110                              // 000000008990: D1CB006E 05BA0D0E
	v_fma_f32 v111, v15, v6, v111                              // 000000008998: D1CB006F 05BE0D0F
	s_addk_i32 s80, 0x80                                       // 0000000089A0: B7500080
	s_cmp_lt_i32 s80, s81                                      // 0000000089A4: BF045150
	s_cbranch_scc0 label_1AC9                                  // 0000000089A8: BF8402DB
	s_waitcnt vmcnt(15) lgkmcnt(0)                             // 0000000089AC: BF8C007F
	v_mul_f32_dpp v4, v25, v34 row_newbcast:0 row_mask:0xf bank_mask:0xf// 0000000089B0: 0A0844FA FF015019
	v_mfma_f32_16x16x32_fp8_fp8 v[8:11], a[96:97], a[0:1], 0   // 0000000089B8: D3F30008 1A020160
	buffer_load_dword v26, v22, s[32:35], 0 offen              // 0000000089C0: E0501000 80081A16
	buffer_load_dwordx4 a[64:67], v42, s[24:27], 0 offen       // 0000000089C8: E05C1000 8086402A
	v_mfma_f32_16x16x32_fp8_fp8 v[8:11], a[98:99], a[2:3], v[8:11]// 0000000089D0: D3F30008 1C220562
	v_mfma_f32_16x16x32_fp8_fp8 v[8:11], a[100:101], a[4:5], v[8:11]// 0000000089D8: D3F30008 1C220964
	v_mfma_f32_16x16x32_fp8_fp8 v[8:11], a[102:103], a[6:7], v[8:11]// 0000000089E0: D3F30008 1C220D66
	v_mfma_f32_16x16x32_fp8_fp8 v[12:15], a[104:105], a[0:1], 0// 0000000089E8: D3F3000C 1A020168
	buffer_load_dwordx4 a[68:71], v42, s[24:27], 0 offen offset:1024// 0000000089F0: E05C1400 8086442A
	v_mfma_f32_16x16x32_fp8_fp8 v[12:15], a[106:107], a[2:3], v[12:15]// 0000000089F8: D3F3000C 1C32056A
	v_mfma_f32_16x16x32_fp8_fp8 v[12:15], a[108:109], a[4:5], v[12:15]// 000000008A00: D3F3000C 1C32096C
	v_mfma_f32_16x16x32_fp8_fp8 v[12:15], a[110:111], a[6:7], v[12:15]// 000000008A08: D3F3000C 1C320D6E
	v_fma_f32 v48, v8, v4, v48                                 // 000000008A10: D1CB0030 04C20908
	v_fma_f32 v49, v9, v4, v49                                 // 000000008A18: D1CB0031 04C60909
	v_fma_f32 v50, v10, v4, v50                                // 000000008A20: D1CB0032 04CA090A
	v_fma_f32 v51, v11, v4, v51                                // 000000008A28: D1CB0033 04CE090B
	v_mul_f32_dpp v6, v25, v34 row_newbcast:1 row_mask:0xf bank_mask:0xf// 000000008A30: 0A0C44FA FF015119
	v_mfma_f32_16x16x32_fp8_fp8 v[8:11], a[112:113], a[0:1], 0 // 000000008A38: D3F30008 1A020170
	buffer_load_dwordx4 a[72:75], v43, s[24:27], 0 offen       // 000000008A40: E05C1000 8086482B
	v_mfma_f32_16x16x32_fp8_fp8 v[8:11], a[114:115], a[2:3], v[8:11]// 000000008A48: D3F30008 1C220572
	v_mfma_f32_16x16x32_fp8_fp8 v[8:11], a[116:117], a[4:5], v[8:11]// 000000008A50: D3F30008 1C220974
	v_mfma_f32_16x16x32_fp8_fp8 v[8:11], a[118:119], a[6:7], v[8:11]// 000000008A58: D3F30008 1C220D76
	v_fma_f32 v56, v12, v4, v56                                // 000000008A60: D1CB0038 04E2090C
	v_fma_f32 v57, v13, v4, v57                                // 000000008A68: D1CB0039 04E6090D
	v_fma_f32 v58, v14, v4, v58                                // 000000008A70: D1CB003A 04EA090E
	v_fma_f32 v59, v15, v4, v59                                // 000000008A78: D1CB003B 04EE090F
	v_mfma_f32_16x16x32_fp8_fp8 v[12:15], a[120:121], a[0:1], 0// 000000008A80: D3F3000C 1A020178
	buffer_load_dwordx4 a[76:79], v43, s[24:27], 0 offen offset:1024// 000000008A88: E05C1400 80864C2B
	v_mfma_f32_16x16x32_fp8_fp8 v[12:15], a[122:123], a[2:3], v[12:15]// 000000008A90: D3F3000C 1C32057A
	v_mfma_f32_16x16x32_fp8_fp8 v[12:15], a[124:125], a[4:5], v[12:15]// 000000008A98: D3F3000C 1C32097C
	v_mfma_f32_16x16x32_fp8_fp8 v[12:15], a[126:127], a[6:7], v[12:15]// 000000008AA0: D3F3000C 1C320D7E
	v_fma_f32 v64, v8, v6, v64                                 // 000000008AA8: D1CB0040 05020D08
	v_fma_f32 v65, v9, v6, v65                                 // 000000008AB0: D1CB0041 05060D09
	v_fma_f32 v66, v10, v6, v66                                // 000000008AB8: D1CB0042 050A0D0A
	v_fma_f32 v67, v11, v6, v67                                // 000000008AC0: D1CB0043 050E0D0B
	v_mul_f32_dpp v4, v25, v35 row_newbcast:0 row_mask:0xf bank_mask:0xf// 000000008AC8: 0A0846FA FF015019
	v_mfma_f32_16x16x32_fp8_fp8 v[8:11], a[96:97], a[8:9], 0   // 000000008AD0: D3F30008 1A021160
	buffer_load_dwordx4 a[80:83], v44, s[24:27], 0 offen       // 000000008AD8: E05C1000 8086502C
	v_mfma_f32_16x16x32_fp8_fp8 v[8:11], a[98:99], a[10:11], v[8:11]// 000000008AE0: D3F30008 1C221562
	v_mfma_f32_16x16x32_fp8_fp8 v[8:11], a[100:101], a[12:13], v[8:11]// 000000008AE8: D3F30008 1C221964
	v_mfma_f32_16x16x32_fp8_fp8 v[8:11], a[102:103], a[14:15], v[8:11]// 000000008AF0: D3F30008 1C221D66
	v_fma_f32 v72, v12, v6, v72                                // 000000008AF8: D1CB0048 05220D0C
	v_fma_f32 v73, v13, v6, v73                                // 000000008B00: D1CB0049 05260D0D
	v_fma_f32 v74, v14, v6, v74                                // 000000008B08: D1CB004A 052A0D0E
	v_fma_f32 v75, v15, v6, v75                                // 000000008B10: D1CB004B 052E0D0F
	v_mfma_f32_16x16x32_fp8_fp8 v[12:15], a[104:105], a[8:9], 0// 000000008B18: D3F3000C 1A021168
	buffer_load_dwordx4 a[84:87], v44, s[24:27], 0 offen offset:1024// 000000008B20: E05C1400 8086542C
	v_mfma_f32_16x16x32_fp8_fp8 v[12:15], a[106:107], a[10:11], v[12:15]// 000000008B28: D3F3000C 1C32156A
	v_mfma_f32_16x16x32_fp8_fp8 v[12:15], a[108:109], a[12:13], v[12:15]// 000000008B30: D3F3000C 1C32196C
	v_mfma_f32_16x16x32_fp8_fp8 v[12:15], a[110:111], a[14:15], v[12:15]// 000000008B38: D3F3000C 1C321D6E
	v_fma_f32 v52, v8, v4, v52                                 // 000000008B40: D1CB0034 04D20908
	v_fma_f32 v53, v9, v4, v53                                 // 000000008B48: D1CB0035 04D60909
	v_fma_f32 v54, v10, v4, v54                                // 000000008B50: D1CB0036 04DA090A
	v_fma_f32 v55, v11, v4, v55                                // 000000008B58: D1CB0037 04DE090B
	v_mul_f32_dpp v6, v25, v35 row_newbcast:1 row_mask:0xf bank_mask:0xf// 000000008B60: 0A0C46FA FF015119
	v_mfma_f32_16x16x32_fp8_fp8 v[8:11], a[112:113], a[8:9], 0 // 000000008B68: D3F30008 1A021170
	buffer_load_dwordx4 a[88:91], v45, s[24:27], 0 offen       // 000000008B70: E05C1000 8086582D
	v_mfma_f32_16x16x32_fp8_fp8 v[8:11], a[114:115], a[10:11], v[8:11]// 000000008B78: D3F30008 1C221572
	v_mfma_f32_16x16x32_fp8_fp8 v[8:11], a[116:117], a[12:13], v[8:11]// 000000008B80: D3F30008 1C221974
	v_mfma_f32_16x16x32_fp8_fp8 v[8:11], a[118:119], a[14:15], v[8:11]// 000000008B88: D3F30008 1C221D76
	v_fma_f32 v60, v12, v4, v60                                // 000000008B90: D1CB003C 04F2090C
	v_fma_f32 v61, v13, v4, v61                                // 000000008B98: D1CB003D 04F6090D
	v_fma_f32 v62, v14, v4, v62                                // 000000008BA0: D1CB003E 04FA090E
	v_fma_f32 v63, v15, v4, v63                                // 000000008BA8: D1CB003F 04FE090F
	v_mfma_f32_16x16x32_fp8_fp8 v[12:15], a[120:121], a[8:9], 0// 000000008BB0: D3F3000C 1A021178
	buffer_load_dwordx4 a[92:95], v45, s[24:27], 0 offen offset:1024// 000000008BB8: E05C1400 80865C2D
	buffer_load_dword v38, s[20:23], 0 offen lds               // 000000008BC0: E0511000 80050026
	s_add_u32 m0, 0x100, s48                                   // 000000008BC8: 807C30FF 00000100
	v_mfma_f32_16x16x32_fp8_fp8 v[12:15], a[122:123], a[10:11], v[12:15]// 000000008BD0: D3F3000C 1C32157A
	v_mfma_f32_16x16x32_fp8_fp8 v[12:15], a[124:125], a[12:13], v[12:15]// 000000008BD8: D3F3000C 1C32197C
	buffer_load_dword v39, s[20:23], 0 offen lds               // 000000008BE0: E0511000 80050027
	s_add_u32 m0, 0x200, s48                                   // 000000008BE8: 807C30FF 00000200
	v_mfma_f32_16x16x32_fp8_fp8 v[12:15], a[126:127], a[14:15], v[12:15]// 000000008BF0: D3F3000C 1C321D7E
	v_fma_f32 v68, v8, v6, v68                                 // 000000008BF8: D1CB0044 05120D08
	v_fma_f32 v69, v9, v6, v69                                 // 000000008C00: D1CB0045 05160D09
	v_fma_f32 v70, v10, v6, v70                                // 000000008C08: D1CB0046 051A0D0A
	v_fma_f32 v71, v11, v6, v71                                // 000000008C10: D1CB0047 051E0D0B
	v_fma_f32 v76, v12, v6, v76                                // 000000008C18: D1CB004C 05320D0C
	v_fma_f32 v77, v13, v6, v77                                // 000000008C20: D1CB004D 05360D0D
	v_fma_f32 v78, v14, v6, v78                                // 000000008C28: D1CB004E 053A0D0E
	v_fma_f32 v79, v15, v6, v79                                // 000000008C30: D1CB004F 053E0D0F
	buffer_load_dword v40, s[20:23], 0 offen lds               // 000000008C38: E0511000 80050028
	s_add_u32 m0, 0x300, s48                                   // 000000008C40: 807C30FF 00000300
	buffer_load_dword v41, s[20:23], 0 offen lds               // 000000008C48: E0511000 80050029
	s_add_u32 m0, 0, s49                                       // 000000008C50: 807C3180
	buffer_load_dword v32, v30, s[28:31], 0 offen              // 000000008C54: E0501000 8007201E
	buffer_load_dword v33, v31, s[28:31], 0 offen              // 000000008C5C: E0501000 8007211F
	s_waitcnt vmcnt(15)                                        // 000000008C64: BF8C0F7F
	s_barrier                                                  // 000000008C68: BF8A0000
	v_mul_f32_dpp v4, v28, v34 row_newbcast:0 row_mask:0xf bank_mask:0xf// 000000008C6C: 0A0844FA FF01501C
	v_mfma_f32_16x16x32_fp8_fp8 v[8:11], a[32:33], a[0:1], 0   // 000000008C74: D3F30008 1A020120
	buffer_load_dword v29, v23, s[32:35], 0 offen              // 000000008C7C: E0501000 80081D17
	buffer_load_dwordx4 a[96:99], v42, s[84:87], 0 offen       // 000000008C84: E05C1000 8095602A
	v_mfma_f32_16x16x32_fp8_fp8 v[8:11], a[34:35], a[2:3], v[8:11]// 000000008C8C: D3F30008 1C220522
	v_mfma_f32_16x16x32_fp8_fp8 v[8:11], a[36:37], a[4:5], v[8:11]// 000000008C94: D3F30008 1C220924
	ds_read_b128 a[16:19], v2 offset:8448                      // 000000008C9C: DBFE2100 10000002
	ds_read_b128 a[20:23], v2 offset:8512                      // 000000008CA4: DBFE2140 14000002
	v_mfma_f32_16x16x32_fp8_fp8 v[8:11], a[38:39], a[6:7], v[8:11]// 000000008CAC: D3F30008 1C220D26
	v_mfma_f32_16x16x32_fp8_fp8 v[12:15], a[40:41], a[0:1], 0  // 000000008CB4: D3F3000C 1A020128
	buffer_load_dwordx4 a[100:103], v42, s[84:87], 0 offen offset:1024// 000000008CBC: E05C1400 8095642A
	v_mfma_f32_16x16x32_fp8_fp8 v[12:15], a[42:43], a[2:3], v[12:15]// 000000008CC4: D3F3000C 1C32052A
	v_mfma_f32_16x16x32_fp8_fp8 v[12:15], a[44:45], a[4:5], v[12:15]// 000000008CCC: D3F3000C 1C32092C
	ds_read_b128 a[24:27], v2 offset:8960                      // 000000008CD4: DBFE2300 18000002
	ds_read_b128 a[28:31], v2 offset:9024                      // 000000008CDC: DBFE2340 1C000002
	v_mfma_f32_16x16x32_fp8_fp8 v[12:15], a[46:47], a[6:7], v[12:15]// 000000008CE4: D3F3000C 1C320D2E
	v_fma_f32 v80, v8, v4, v80                                 // 000000008CEC: D1CB0050 05420908
	v_fma_f32 v81, v9, v4, v81                                 // 000000008CF4: D1CB0051 05460909
	v_fma_f32 v82, v10, v4, v82                                // 000000008CFC: D1CB0052 054A090A
	v_fma_f32 v83, v11, v4, v83                                // 000000008D04: D1CB0053 054E090B
	v_mul_f32_dpp v6, v28, v34 row_newbcast:1 row_mask:0xf bank_mask:0xf// 000000008D0C: 0A0C44FA FF01511C
	v_mfma_f32_16x16x32_fp8_fp8 v[8:11], a[48:49], a[0:1], 0   // 000000008D14: D3F30008 1A020130
	buffer_load_dwordx4 a[104:107], v43, s[84:87], 0 offen     // 000000008D1C: E05C1000 8095682B
	v_mfma_f32_16x16x32_fp8_fp8 v[8:11], a[50:51], a[2:3], v[8:11]// 000000008D24: D3F30008 1C220532
	v_mfma_f32_16x16x32_fp8_fp8 v[8:11], a[52:53], a[4:5], v[8:11]// 000000008D2C: D3F30008 1C220934
	v_mfma_f32_16x16x32_fp8_fp8 v[8:11], a[54:55], a[6:7], v[8:11]// 000000008D34: D3F30008 1C220D36
	v_fma_f32 v88, v12, v4, v88                                // 000000008D3C: D1CB0058 0562090C
	v_fma_f32 v89, v13, v4, v89                                // 000000008D44: D1CB0059 0566090D
	v_fma_f32 v90, v14, v4, v90                                // 000000008D4C: D1CB005A 056A090E
	v_fma_f32 v91, v15, v4, v91                                // 000000008D54: D1CB005B 056E090F
	v_mfma_f32_16x16x32_fp8_fp8 v[12:15], a[56:57], a[0:1], 0  // 000000008D5C: D3F3000C 1A020138
	buffer_load_dwordx4 a[108:111], v43, s[84:87], 0 offen offset:1024// 000000008D64: E05C1400 80956C2B
	v_mfma_f32_16x16x32_fp8_fp8 v[12:15], a[58:59], a[2:3], v[12:15]// 000000008D6C: D3F3000C 1C32053A
	v_mfma_f32_16x16x32_fp8_fp8 v[12:15], a[60:61], a[4:5], v[12:15]// 000000008D74: D3F3000C 1C32093C
	v_mfma_f32_16x16x32_fp8_fp8 v[12:15], a[62:63], a[6:7], v[12:15]// 000000008D7C: D3F3000C 1C320D3E
	v_fma_f32 v96, v8, v6, v96                                 // 000000008D84: D1CB0060 05820D08
	v_fma_f32 v97, v9, v6, v97                                 // 000000008D8C: D1CB0061 05860D09
	v_fma_f32 v98, v10, v6, v98                                // 000000008D94: D1CB0062 058A0D0A
	v_fma_f32 v99, v11, v6, v99                                // 000000008D9C: D1CB0063 058E0D0B
	v_mul_f32_dpp v4, v28, v35 row_newbcast:0 row_mask:0xf bank_mask:0xf// 000000008DA4: 0A0846FA FF01501C
	v_mfma_f32_16x16x32_fp8_fp8 v[8:11], a[32:33], a[8:9], 0   // 000000008DAC: D3F30008 1A021120
	buffer_load_dwordx4 a[112:115], v44, s[84:87], 0 offen     // 000000008DB4: E05C1000 8095702C
	v_mfma_f32_16x16x32_fp8_fp8 v[8:11], a[34:35], a[10:11], v[8:11]// 000000008DBC: D3F30008 1C221522
	v_mfma_f32_16x16x32_fp8_fp8 v[8:11], a[36:37], a[12:13], v[8:11]// 000000008DC4: D3F30008 1C221924
	v_mfma_f32_16x16x32_fp8_fp8 v[8:11], a[38:39], a[14:15], v[8:11]// 000000008DCC: D3F30008 1C221D26
	v_fma_f32 v104, v12, v6, v104                              // 000000008DD4: D1CB0068 05A20D0C
	v_fma_f32 v105, v13, v6, v105                              // 000000008DDC: D1CB0069 05A60D0D
	v_fma_f32 v106, v14, v6, v106                              // 000000008DE4: D1CB006A 05AA0D0E
	v_fma_f32 v107, v15, v6, v107                              // 000000008DEC: D1CB006B 05AE0D0F
	v_mfma_f32_16x16x32_fp8_fp8 v[12:15], a[40:41], a[8:9], 0  // 000000008DF4: D3F3000C 1A021128
	buffer_load_dwordx4 a[116:119], v44, s[84:87], 0 offen offset:1024// 000000008DFC: E05C1400 8095742C
	v_mfma_f32_16x16x32_fp8_fp8 v[12:15], a[42:43], a[10:11], v[12:15]// 000000008E04: D3F3000C 1C32152A
	v_mfma_f32_16x16x32_fp8_fp8 v[12:15], a[44:45], a[12:13], v[12:15]// 000000008E0C: D3F3000C 1C32192C
	v_mfma_f32_16x16x32_fp8_fp8 v[12:15], a[46:47], a[14:15], v[12:15]// 000000008E14: D3F3000C 1C321D2E
	v_fma_f32 v84, v8, v4, v84                                 // 000000008E1C: D1CB0054 05520908
	v_fma_f32 v85, v9, v4, v85                                 // 000000008E24: D1CB0055 05560909
	v_fma_f32 v86, v10, v4, v86                                // 000000008E2C: D1CB0056 055A090A
	v_fma_f32 v87, v11, v4, v87                                // 000000008E34: D1CB0057 055E090B
	v_mul_f32_dpp v6, v28, v35 row_newbcast:1 row_mask:0xf bank_mask:0xf// 000000008E3C: 0A0C46FA FF01511C
	v_mfma_f32_16x16x32_fp8_fp8 v[8:11], a[48:49], a[8:9], 0   // 000000008E44: D3F30008 1A021130
	buffer_load_dwordx4 a[120:123], v45, s[84:87], 0 offen     // 000000008E4C: E05C1000 8095782D
	s_add_u32 s60, 0x180, s80                                  // 000000008E54: 803C50FF 00000180
	s_cmp_lt_u32 s60, s81                                      // 000000008E5C: BF0A513C
	s_cselect_b32 s57, s57, 0                                  // 000000008E60: 85398039
	s_cselect_b32 s3, s3, 0                                    // 000000008E64: 85038003
	v_mfma_f32_16x16x32_fp8_fp8 v[8:11], a[50:51], a[10:11], v[8:11]// 000000008E68: D3F30008 1C221532
	s_add_u32 s60, 0x100, s80                                  // 000000008E70: 803C50FF 00000100
	s_cmp_lt_u32 s60, s81                                      // 000000008E78: BF0A513C
	s_cselect_b32 s58, s58, 0                                  // 000000008E7C: 853A803A
	v_mfma_f32_16x16x32_fp8_fp8 v[8:11], a[52:53], a[12:13], v[8:11]// 000000008E80: D3F30008 1C221934
	s_add_u32 s60, 0x100, s80                                  // 000000008E88: 803C50FF 00000100
	s_cmp_lt_u32 s60, s81                                      // 000000008E90: BF0A513C
	s_cselect_b32 s83, s83, 0                                  // 000000008E94: 85538053
	s_cselect_b32 s4, s4, 0                                    // 000000008E98: 85048004
	v_mfma_f32_16x16x32_fp8_fp8 v[8:11], a[54:55], a[14:15], v[8:11]// 000000008E9C: D3F30008 1C221D36
	s_add_u32 s24, s58, s24                                    // 000000008EA4: 8018183A
	s_addc_u32 s25, 0, s25                                     // 000000008EA8: 82191980
	v_fma_f32 v92, v12, v4, v92                                // 000000008EAC: D1CB005C 0572090C
	v_fma_f32 v93, v13, v4, v93                                // 000000008EB4: D1CB005D 0576090D
	v_fma_f32 v94, v14, v4, v94                                // 000000008EBC: D1CB005E 057A090E
	v_fma_f32 v95, v15, v4, v95                                // 000000008EC4: D1CB005F 057E090F
	v_mfma_f32_16x16x32_fp8_fp8 v[12:15], a[56:57], a[8:9], 0  // 000000008ECC: D3F3000C 1A021138
	buffer_load_dwordx4 a[124:127], v45, s[84:87], 0 offen offset:1024// 000000008ED4: E05C1400 80957C2D
	s_add_u32 s20, s57, s20                                    // 000000008EDC: 80141439
	s_addc_u32 s21, 0, s21                                     // 000000008EE0: 82151580
	s_add_u32 s28, s3, s28                                     // 000000008EE4: 801C1C03
	s_addc_u32 s29, 0, s29                                     // 000000008EE8: 821D1D80
	v_mfma_f32_16x16x32_fp8_fp8 v[12:15], a[58:59], a[10:11], v[12:15]// 000000008EEC: D3F3000C 1C32153A
	s_add_u32 s84, s83, s84                                    // 000000008EF4: 80545453
	s_addc_u32 s85, 0, s85                                     // 000000008EF8: 82555580
	v_mfma_f32_16x16x32_fp8_fp8 v[12:15], a[60:61], a[12:13], v[12:15]// 000000008EFC: D3F3000C 1C32193C
	s_add_u32 s32, s4, s32                                     // 000000008F04: 80202004
	s_addc_u32 s33, 0, s33                                     // 000000008F08: 82212180
	v_mfma_f32_16x16x32_fp8_fp8 v[12:15], a[62:63], a[14:15], v[12:15]// 000000008F0C: D3F3000C 1C321D3E
	v_fma_f32 v100, v8, v6, v100                               // 000000008F14: D1CB0064 05920D08
	v_fma_f32 v101, v9, v6, v101                               // 000000008F1C: D1CB0065 05960D09
	v_fma_f32 v102, v10, v6, v102                              // 000000008F24: D1CB0066 059A0D0A
	v_fma_f32 v103, v11, v6, v103                              // 000000008F2C: D1CB0067 059E0D0B
	v_fma_f32 v108, v12, v6, v108                              // 000000008F34: D1CB006C 05B20D0C
	v_fma_f32 v109, v13, v6, v109                              // 000000008F3C: D1CB006D 05B60D0D
	v_fma_f32 v110, v14, v6, v110                              // 000000008F44: D1CB006E 05BA0D0E
	v_fma_f32 v111, v15, v6, v111                              // 000000008F4C: D1CB006F 05BE0D0F
	s_addk_i32 s80, 0x80                                       // 000000008F54: B7500080
	s_cmp_lt_i32 s80, s81                                      // 000000008F58: BF045150
	s_cbranch_scc0 label_1AC9                                  // 000000008F5C: BF84016E
	s_waitcnt vmcnt(15) lgkmcnt(0)                             // 000000008F60: BF8C007F
	v_mul_f32_dpp v4, v26, v36 row_newbcast:0 row_mask:0xf bank_mask:0xf// 000000008F64: 0A0848FA FF01501A
	v_mfma_f32_16x16x32_fp8_fp8 v[8:11], a[64:65], a[16:17], 0 // 000000008F6C: D3F30008 1A022140
	buffer_load_dword v24, v22, s[32:35], 0 offen              // 000000008F74: E0501000 80081816
	buffer_load_dwordx4 a[32:35], v42, s[24:27], 0 offen       // 000000008F7C: E05C1000 8086202A
	v_mfma_f32_16x16x32_fp8_fp8 v[8:11], a[66:67], a[18:19], v[8:11]// 000000008F84: D3F30008 1C222542
	v_mfma_f32_16x16x32_fp8_fp8 v[8:11], a[68:69], a[20:21], v[8:11]// 000000008F8C: D3F30008 1C222944
	v_mfma_f32_16x16x32_fp8_fp8 v[8:11], a[70:71], a[22:23], v[8:11]// 000000008F94: D3F30008 1C222D46
	v_mfma_f32_16x16x32_fp8_fp8 v[12:15], a[72:73], a[16:17], 0// 000000008F9C: D3F3000C 1A022148
	buffer_load_dwordx4 a[36:39], v42, s[24:27], 0 offen offset:1024// 000000008FA4: E05C1400 8086242A
	v_mfma_f32_16x16x32_fp8_fp8 v[12:15], a[74:75], a[18:19], v[12:15]// 000000008FAC: D3F3000C 1C32254A
	v_mfma_f32_16x16x32_fp8_fp8 v[12:15], a[76:77], a[20:21], v[12:15]// 000000008FB4: D3F3000C 1C32294C
	v_mfma_f32_16x16x32_fp8_fp8 v[12:15], a[78:79], a[22:23], v[12:15]// 000000008FBC: D3F3000C 1C322D4E
	v_fma_f32 v48, v8, v4, v48                                 // 000000008FC4: D1CB0030 04C20908
	v_fma_f32 v49, v9, v4, v49                                 // 000000008FCC: D1CB0031 04C60909
	v_fma_f32 v50, v10, v4, v50                                // 000000008FD4: D1CB0032 04CA090A
	v_fma_f32 v51, v11, v4, v51                                // 000000008FDC: D1CB0033 04CE090B
	v_mul_f32_dpp v6, v26, v36 row_newbcast:1 row_mask:0xf bank_mask:0xf// 000000008FE4: 0A0C48FA FF01511A
	v_mfma_f32_16x16x32_fp8_fp8 v[8:11], a[80:81], a[16:17], 0 // 000000008FEC: D3F30008 1A022150
	buffer_load_dwordx4 a[40:43], v43, s[24:27], 0 offen       // 000000008FF4: E05C1000 8086282B
	v_mfma_f32_16x16x32_fp8_fp8 v[8:11], a[82:83], a[18:19], v[8:11]// 000000008FFC: D3F30008 1C222552
	v_mfma_f32_16x16x32_fp8_fp8 v[8:11], a[84:85], a[20:21], v[8:11]// 000000009004: D3F30008 1C222954
	v_mfma_f32_16x16x32_fp8_fp8 v[8:11], a[86:87], a[22:23], v[8:11]// 00000000900C: D3F30008 1C222D56
	v_fma_f32 v56, v12, v4, v56                                // 000000009014: D1CB0038 04E2090C
	v_fma_f32 v57, v13, v4, v57                                // 00000000901C: D1CB0039 04E6090D
	v_fma_f32 v58, v14, v4, v58                                // 000000009024: D1CB003A 04EA090E
	v_fma_f32 v59, v15, v4, v59                                // 00000000902C: D1CB003B 04EE090F
	v_mfma_f32_16x16x32_fp8_fp8 v[12:15], a[88:89], a[16:17], 0// 000000009034: D3F3000C 1A022158
	buffer_load_dwordx4 a[44:47], v43, s[24:27], 0 offen offset:1024// 00000000903C: E05C1400 80862C2B
	v_mfma_f32_16x16x32_fp8_fp8 v[12:15], a[90:91], a[18:19], v[12:15]// 000000009044: D3F3000C 1C32255A
	v_mfma_f32_16x16x32_fp8_fp8 v[12:15], a[92:93], a[20:21], v[12:15]// 00000000904C: D3F3000C 1C32295C
	v_mfma_f32_16x16x32_fp8_fp8 v[12:15], a[94:95], a[22:23], v[12:15]// 000000009054: D3F3000C 1C322D5E
	v_fma_f32 v64, v8, v6, v64                                 // 00000000905C: D1CB0040 05020D08
	v_fma_f32 v65, v9, v6, v65                                 // 000000009064: D1CB0041 05060D09
	v_fma_f32 v66, v10, v6, v66                                // 00000000906C: D1CB0042 050A0D0A
	v_fma_f32 v67, v11, v6, v67                                // 000000009074: D1CB0043 050E0D0B
	v_mul_f32_dpp v4, v26, v37 row_newbcast:0 row_mask:0xf bank_mask:0xf// 00000000907C: 0A084AFA FF01501A
	v_mfma_f32_16x16x32_fp8_fp8 v[8:11], a[64:65], a[24:25], 0 // 000000009084: D3F30008 1A023140
	buffer_load_dwordx4 a[48:51], v44, s[24:27], 0 offen       // 00000000908C: E05C1000 8086302C
	v_mfma_f32_16x16x32_fp8_fp8 v[8:11], a[66:67], a[26:27], v[8:11]// 000000009094: D3F30008 1C223542
	v_mfma_f32_16x16x32_fp8_fp8 v[8:11], a[68:69], a[28:29], v[8:11]// 00000000909C: D3F30008 1C223944
	v_mfma_f32_16x16x32_fp8_fp8 v[8:11], a[70:71], a[30:31], v[8:11]// 0000000090A4: D3F30008 1C223D46
	v_fma_f32 v72, v12, v6, v72                                // 0000000090AC: D1CB0048 05220D0C
	v_fma_f32 v73, v13, v6, v73                                // 0000000090B4: D1CB0049 05260D0D
	v_fma_f32 v74, v14, v6, v74                                // 0000000090BC: D1CB004A 052A0D0E
	v_fma_f32 v75, v15, v6, v75                                // 0000000090C4: D1CB004B 052E0D0F
	v_mfma_f32_16x16x32_fp8_fp8 v[12:15], a[72:73], a[24:25], 0// 0000000090CC: D3F3000C 1A023148
	buffer_load_dwordx4 a[52:55], v44, s[24:27], 0 offen offset:1024// 0000000090D4: E05C1400 8086342C
	v_mfma_f32_16x16x32_fp8_fp8 v[12:15], a[74:75], a[26:27], v[12:15]// 0000000090DC: D3F3000C 1C32354A
	v_mfma_f32_16x16x32_fp8_fp8 v[12:15], a[76:77], a[28:29], v[12:15]// 0000000090E4: D3F3000C 1C32394C
	v_mfma_f32_16x16x32_fp8_fp8 v[12:15], a[78:79], a[30:31], v[12:15]// 0000000090EC: D3F3000C 1C323D4E
	v_fma_f32 v52, v8, v4, v52                                 // 0000000090F4: D1CB0034 04D20908
	v_fma_f32 v53, v9, v4, v53                                 // 0000000090FC: D1CB0035 04D60909
	v_fma_f32 v54, v10, v4, v54                                // 000000009104: D1CB0036 04DA090A
	v_fma_f32 v55, v11, v4, v55                                // 00000000910C: D1CB0037 04DE090B
	v_mul_f32_dpp v6, v26, v37 row_newbcast:1 row_mask:0xf bank_mask:0xf// 000000009114: 0A0C4AFA FF01511A
	v_mfma_f32_16x16x32_fp8_fp8 v[8:11], a[80:81], a[24:25], 0 // 00000000911C: D3F30008 1A023150
	buffer_load_dwordx4 a[56:59], v45, s[24:27], 0 offen       // 000000009124: E05C1000 8086382D
	v_mfma_f32_16x16x32_fp8_fp8 v[8:11], a[82:83], a[26:27], v[8:11]// 00000000912C: D3F30008 1C223552
	v_mfma_f32_16x16x32_fp8_fp8 v[8:11], a[84:85], a[28:29], v[8:11]// 000000009134: D3F30008 1C223954
	v_mfma_f32_16x16x32_fp8_fp8 v[8:11], a[86:87], a[30:31], v[8:11]// 00000000913C: D3F30008 1C223D56
	v_fma_f32 v60, v12, v4, v60                                // 000000009144: D1CB003C 04F2090C
	v_fma_f32 v61, v13, v4, v61                                // 00000000914C: D1CB003D 04F6090D
	v_fma_f32 v62, v14, v4, v62                                // 000000009154: D1CB003E 04FA090E
	v_fma_f32 v63, v15, v4, v63                                // 00000000915C: D1CB003F 04FE090F
	v_mfma_f32_16x16x32_fp8_fp8 v[12:15], a[88:89], a[24:25], 0// 000000009164: D3F3000C 1A023158
	buffer_load_dwordx4 a[60:63], v45, s[24:27], 0 offen offset:1024// 00000000916C: E05C1400 80863C2D
	buffer_load_dword v38, s[20:23], 0 offen lds               // 000000009174: E0511000 80050026
	s_add_u32 m0, 0x100, s49                                   // 00000000917C: 807C31FF 00000100
	v_mfma_f32_16x16x32_fp8_fp8 v[12:15], a[90:91], a[26:27], v[12:15]// 000000009184: D3F3000C 1C32355A
	v_mfma_f32_16x16x32_fp8_fp8 v[12:15], a[92:93], a[28:29], v[12:15]// 00000000918C: D3F3000C 1C32395C
	buffer_load_dword v39, s[20:23], 0 offen lds               // 000000009194: E0511000 80050027
	s_add_u32 m0, 0x200, s49                                   // 00000000919C: 807C31FF 00000200
	v_mfma_f32_16x16x32_fp8_fp8 v[12:15], a[94:95], a[30:31], v[12:15]// 0000000091A4: D3F3000C 1C323D5E
	v_fma_f32 v68, v8, v6, v68                                 // 0000000091AC: D1CB0044 05120D08
	v_fma_f32 v69, v9, v6, v69                                 // 0000000091B4: D1CB0045 05160D09
	v_fma_f32 v70, v10, v6, v70                                // 0000000091BC: D1CB0046 051A0D0A
	v_fma_f32 v71, v11, v6, v71                                // 0000000091C4: D1CB0047 051E0D0B
	v_fma_f32 v76, v12, v6, v76                                // 0000000091CC: D1CB004C 05320D0C
	v_fma_f32 v77, v13, v6, v77                                // 0000000091D4: D1CB004D 05360D0D
	v_fma_f32 v78, v14, v6, v78                                // 0000000091DC: D1CB004E 053A0D0E
	v_fma_f32 v79, v15, v6, v79                                // 0000000091E4: D1CB004F 053E0D0F
	buffer_load_dword v40, s[20:23], 0 offen lds               // 0000000091EC: E0511000 80050028
	s_add_u32 m0, 0x300, s49                                   // 0000000091F4: 807C31FF 00000300
	buffer_load_dword v41, s[20:23], 0 offen lds               // 0000000091FC: E0511000 80050029
	s_add_u32 m0, 0, s50                                       // 000000009204: 807C3280
	buffer_load_dword v34, v30, s[28:31], 0 offen              // 000000009208: E0501000 8007221E
	buffer_load_dword v35, v31, s[28:31], 0 offen              // 000000009210: E0501000 8007231F
	s_waitcnt vmcnt(15)                                        // 000000009218: BF8C0F7F
	s_barrier                                                  // 00000000921C: BF8A0000
	v_mul_f32_dpp v4, v29, v36 row_newbcast:0 row_mask:0xf bank_mask:0xf// 000000009220: 0A0848FA FF01501D
	v_mfma_f32_16x16x32_fp8_fp8 v[8:11], a[96:97], a[16:17], 0 // 000000009228: D3F30008 1A022160
	buffer_load_dword v27, v23, s[32:35], 0 offen              // 000000009230: E0501000 80081B17
	buffer_load_dwordx4 a[64:67], v42, s[84:87], 0 offen       // 000000009238: E05C1000 8095402A
	v_mfma_f32_16x16x32_fp8_fp8 v[8:11], a[98:99], a[18:19], v[8:11]// 000000009240: D3F30008 1C222562
	v_mfma_f32_16x16x32_fp8_fp8 v[8:11], a[100:101], a[20:21], v[8:11]// 000000009248: D3F30008 1C222964
	ds_read_b128 a[0:3], v2                                    // 000000009250: DBFE0000 00000002
	ds_read_b128 a[4:7], v2 offset:64                          // 000000009258: DBFE0040 04000002
	v_mfma_f32_16x16x32_fp8_fp8 v[8:11], a[102:103], a[22:23], v[8:11]// 000000009260: D3F30008 1C222D66
	v_mfma_f32_16x16x32_fp8_fp8 v[12:15], a[104:105], a[16:17], 0// 000000009268: D3F3000C 1A022168
	buffer_load_dwordx4 a[68:71], v42, s[84:87], 0 offen offset:1024// 000000009270: E05C1400 8095442A
	v_mfma_f32_16x16x32_fp8_fp8 v[12:15], a[106:107], a[18:19], v[12:15]// 000000009278: D3F3000C 1C32256A
	v_mfma_f32_16x16x32_fp8_fp8 v[12:15], a[108:109], a[20:21], v[12:15]// 000000009280: D3F3000C 1C32296C
	ds_read_b128 a[8:11], v2 offset:512                        // 000000009288: DBFE0200 08000002
	ds_read_b128 a[12:15], v2 offset:576                       // 000000009290: DBFE0240 0C000002
	v_mfma_f32_16x16x32_fp8_fp8 v[12:15], a[110:111], a[22:23], v[12:15]// 000000009298: D3F3000C 1C322D6E
	v_fma_f32 v80, v8, v4, v80                                 // 0000000092A0: D1CB0050 05420908
	v_fma_f32 v81, v9, v4, v81                                 // 0000000092A8: D1CB0051 05460909
	v_fma_f32 v82, v10, v4, v82                                // 0000000092B0: D1CB0052 054A090A
	v_fma_f32 v83, v11, v4, v83                                // 0000000092B8: D1CB0053 054E090B
	v_mul_f32_dpp v6, v29, v36 row_newbcast:1 row_mask:0xf bank_mask:0xf// 0000000092C0: 0A0C48FA FF01511D
	v_mfma_f32_16x16x32_fp8_fp8 v[8:11], a[112:113], a[16:17], 0// 0000000092C8: D3F30008 1A022170
	buffer_load_dwordx4 a[72:75], v43, s[84:87], 0 offen       // 0000000092D0: E05C1000 8095482B
	v_mfma_f32_16x16x32_fp8_fp8 v[8:11], a[114:115], a[18:19], v[8:11]// 0000000092D8: D3F30008 1C222572
	v_mfma_f32_16x16x32_fp8_fp8 v[8:11], a[116:117], a[20:21], v[8:11]// 0000000092E0: D3F30008 1C222974
	v_mfma_f32_16x16x32_fp8_fp8 v[8:11], a[118:119], a[22:23], v[8:11]// 0000000092E8: D3F30008 1C222D76
	v_fma_f32 v88, v12, v4, v88                                // 0000000092F0: D1CB0058 0562090C
	v_fma_f32 v89, v13, v4, v89                                // 0000000092F8: D1CB0059 0566090D
	v_fma_f32 v90, v14, v4, v90                                // 000000009300: D1CB005A 056A090E
	v_fma_f32 v91, v15, v4, v91                                // 000000009308: D1CB005B 056E090F
	v_mfma_f32_16x16x32_fp8_fp8 v[12:15], a[120:121], a[16:17], 0// 000000009310: D3F3000C 1A022178
	buffer_load_dwordx4 a[76:79], v43, s[84:87], 0 offen offset:1024// 000000009318: E05C1400 80954C2B
	v_mfma_f32_16x16x32_fp8_fp8 v[12:15], a[122:123], a[18:19], v[12:15]// 000000009320: D3F3000C 1C32257A
	v_mfma_f32_16x16x32_fp8_fp8 v[12:15], a[124:125], a[20:21], v[12:15]// 000000009328: D3F3000C 1C32297C
	v_mfma_f32_16x16x32_fp8_fp8 v[12:15], a[126:127], a[22:23], v[12:15]// 000000009330: D3F3000C 1C322D7E
	v_fma_f32 v96, v8, v6, v96                                 // 000000009338: D1CB0060 05820D08
	v_fma_f32 v97, v9, v6, v97                                 // 000000009340: D1CB0061 05860D09
	v_fma_f32 v98, v10, v6, v98                                // 000000009348: D1CB0062 058A0D0A
	v_fma_f32 v99, v11, v6, v99                                // 000000009350: D1CB0063 058E0D0B
	v_mul_f32_dpp v4, v29, v37 row_newbcast:0 row_mask:0xf bank_mask:0xf// 000000009358: 0A084AFA FF01501D
	v_mfma_f32_16x16x32_fp8_fp8 v[8:11], a[96:97], a[24:25], 0 // 000000009360: D3F30008 1A023160
	buffer_load_dwordx4 a[80:83], v44, s[84:87], 0 offen       // 000000009368: E05C1000 8095502C
	v_mfma_f32_16x16x32_fp8_fp8 v[8:11], a[98:99], a[26:27], v[8:11]// 000000009370: D3F30008 1C223562
	v_mfma_f32_16x16x32_fp8_fp8 v[8:11], a[100:101], a[28:29], v[8:11]// 000000009378: D3F30008 1C223964
	v_mfma_f32_16x16x32_fp8_fp8 v[8:11], a[102:103], a[30:31], v[8:11]// 000000009380: D3F30008 1C223D66
	v_fma_f32 v104, v12, v6, v104                              // 000000009388: D1CB0068 05A20D0C
	v_fma_f32 v105, v13, v6, v105                              // 000000009390: D1CB0069 05A60D0D
	v_fma_f32 v106, v14, v6, v106                              // 000000009398: D1CB006A 05AA0D0E
	v_fma_f32 v107, v15, v6, v107                              // 0000000093A0: D1CB006B 05AE0D0F
	v_mfma_f32_16x16x32_fp8_fp8 v[12:15], a[104:105], a[24:25], 0// 0000000093A8: D3F3000C 1A023168
	buffer_load_dwordx4 a[84:87], v44, s[84:87], 0 offen offset:1024// 0000000093B0: E05C1400 8095542C
	v_mfma_f32_16x16x32_fp8_fp8 v[12:15], a[106:107], a[26:27], v[12:15]// 0000000093B8: D3F3000C 1C32356A
	v_mfma_f32_16x16x32_fp8_fp8 v[12:15], a[108:109], a[28:29], v[12:15]// 0000000093C0: D3F3000C 1C32396C
	v_mfma_f32_16x16x32_fp8_fp8 v[12:15], a[110:111], a[30:31], v[12:15]// 0000000093C8: D3F3000C 1C323D6E
	v_fma_f32 v84, v8, v4, v84                                 // 0000000093D0: D1CB0054 05520908
	v_fma_f32 v85, v9, v4, v85                                 // 0000000093D8: D1CB0055 05560909
	v_fma_f32 v86, v10, v4, v86                                // 0000000093E0: D1CB0056 055A090A
	v_fma_f32 v87, v11, v4, v87                                // 0000000093E8: D1CB0057 055E090B
	v_mul_f32_dpp v6, v29, v37 row_newbcast:1 row_mask:0xf bank_mask:0xf// 0000000093F0: 0A0C4AFA FF01511D
	v_mfma_f32_16x16x32_fp8_fp8 v[8:11], a[112:113], a[24:25], 0// 0000000093F8: D3F30008 1A023170
	buffer_load_dwordx4 a[88:91], v45, s[84:87], 0 offen       // 000000009400: E05C1000 8095582D
	s_add_u32 s60, 0x180, s80                                  // 000000009408: 803C50FF 00000180
	s_cmp_lt_u32 s60, s81                                      // 000000009410: BF0A513C
	s_cselect_b32 s57, s57, 0                                  // 000000009414: 85398039
	s_cselect_b32 s3, s3, 0                                    // 000000009418: 85038003
	v_mfma_f32_16x16x32_fp8_fp8 v[8:11], a[114:115], a[26:27], v[8:11]// 00000000941C: D3F30008 1C223572
	s_add_u32 s60, 0x100, s80                                  // 000000009424: 803C50FF 00000100
	s_cmp_lt_u32 s60, s81                                      // 00000000942C: BF0A513C
	s_cselect_b32 s58, s58, 0                                  // 000000009430: 853A803A
	v_mfma_f32_16x16x32_fp8_fp8 v[8:11], a[116:117], a[28:29], v[8:11]// 000000009434: D3F30008 1C223974
	s_add_u32 s60, 0x100, s80                                  // 00000000943C: 803C50FF 00000100
	s_cmp_lt_u32 s60, s81                                      // 000000009444: BF0A513C
	s_cselect_b32 s83, s83, 0                                  // 000000009448: 85538053
	s_cselect_b32 s4, s4, 0                                    // 00000000944C: 85048004
	v_mfma_f32_16x16x32_fp8_fp8 v[8:11], a[118:119], a[30:31], v[8:11]// 000000009450: D3F30008 1C223D76
	s_add_u32 s24, s58, s24                                    // 000000009458: 8018183A
	s_addc_u32 s25, 0, s25                                     // 00000000945C: 82191980
	v_fma_f32 v92, v12, v4, v92                                // 000000009460: D1CB005C 0572090C
	v_fma_f32 v93, v13, v4, v93                                // 000000009468: D1CB005D 0576090D
	v_fma_f32 v94, v14, v4, v94                                // 000000009470: D1CB005E 057A090E
	v_fma_f32 v95, v15, v4, v95                                // 000000009478: D1CB005F 057E090F
	v_mfma_f32_16x16x32_fp8_fp8 v[12:15], a[120:121], a[24:25], 0// 000000009480: D3F3000C 1A023178
	buffer_load_dwordx4 a[92:95], v45, s[84:87], 0 offen offset:1024// 000000009488: E05C1400 80955C2D
	s_add_u32 s20, s57, s20                                    // 000000009490: 80141439
	s_addc_u32 s21, 0, s21                                     // 000000009494: 82151580
	s_add_u32 s28, s3, s28                                     // 000000009498: 801C1C03
	s_addc_u32 s29, 0, s29                                     // 00000000949C: 821D1D80
	v_mfma_f32_16x16x32_fp8_fp8 v[12:15], a[122:123], a[26:27], v[12:15]// 0000000094A0: D3F3000C 1C32357A
	s_add_u32 s84, s83, s84                                    // 0000000094A8: 80545453
	s_addc_u32 s85, 0, s85                                     // 0000000094AC: 82555580
	v_mfma_f32_16x16x32_fp8_fp8 v[12:15], a[124:125], a[28:29], v[12:15]// 0000000094B0: D3F3000C 1C32397C
	s_add_u32 s32, s4, s32                                     // 0000000094B8: 80202004
	s_addc_u32 s33, 0, s33                                     // 0000000094BC: 82212180
	v_mfma_f32_16x16x32_fp8_fp8 v[12:15], a[126:127], a[30:31], v[12:15]// 0000000094C0: D3F3000C 1C323D7E
	v_fma_f32 v100, v8, v6, v100                               // 0000000094C8: D1CB0064 05920D08
	v_fma_f32 v101, v9, v6, v101                               // 0000000094D0: D1CB0065 05960D09
	v_fma_f32 v102, v10, v6, v102                              // 0000000094D8: D1CB0066 059A0D0A
	v_fma_f32 v103, v11, v6, v103                              // 0000000094E0: D1CB0067 059E0D0B
	v_fma_f32 v108, v12, v6, v108                              // 0000000094E8: D1CB006C 05B20D0C
	v_fma_f32 v109, v13, v6, v109                              // 0000000094F0: D1CB006D 05B60D0D
	v_fma_f32 v110, v14, v6, v110                              // 0000000094F8: D1CB006E 05BA0D0E
	v_fma_f32 v111, v15, v6, v111                              // 000000009500: D1CB006F 05BE0D0F
	s_addk_i32 s80, 0x80                                       // 000000009508: B7500080
	s_cmp_lt_i32 s80, s81                                      // 00000000950C: BF045150
	s_cbranch_scc0 label_1AC9                                  // 000000009510: BF840001
	s_branch label_123A                                        // 000000009514: BF82F771

0000000000009518 <label_1AC9>:
	s_cmp_eq_u32 s88, 0                                        // 000000009518: BF068058
	s_cbranch_scc0 label_1F9A                                  // 00000000951C: BF8404CF
	s_cmp_eq_u32 s89, 0                                        // 000000009520: BF068059
	s_cbranch_scc1 label_1C12                                  // 000000009524: BF850145
	v_mov_b32_e32 v8, v1                                       // 000000009528: 7E100301
	v_mov_b32_e32 v9, v1                                       // 00000000952C: 7E120301
	s_mov_b32 s60, s6                                          // 000000009530: BEBC0006
	s_mov_b32 s61, s6                                          // 000000009534: BEBD0006
	v_pk_mul_f32 v[4:5], v[48:49], v[48:49]                    // 000000009538: D3B14004 18026130
	v_pk_mul_f32 v[6:7], v[50:51], v[50:51]                    // 000000009540: D3B14006 18026532
	v_pk_fma_f32 v[4:5], v[4:5], s[78:79], v[8:9]              // 000000009548: D3B04004 1C209D04
	v_pk_fma_f32 v[6:7], v[6:7], s[78:79], v[8:9]              // 000000009550: D3B04006 1C209D06
	v_pk_mul_f32 v[4:5], v[4:5], v[48:49]                      // 000000009558: D3B14004 18026104
	v_pk_mul_f32 v[6:7], v[6:7], v[50:51]                      // 000000009560: D3B14006 18026506
	v_pk_mul_f32 v[4:5], v[4:5], s[60:61]                      // 000000009568: D3B14004 18007904
	v_pk_mul_f32 v[6:7], v[6:7], s[60:61]                      // 000000009570: D3B14006 18007906
	v_exp_f32_e32 v4, v4                                       // 000000009578: 7E084104
	v_exp_f32_e32 v5, v5                                       // 00000000957C: 7E0A4105
	v_exp_f32_e32 v6, v6                                       // 000000009580: 7E0C4106
	v_exp_f32_e32 v7, v7                                       // 000000009584: 7E0E4107
	v_add_f32_e64 v4, v4, 1.0                                  // 000000009588: D1010004 0001E504
	v_add_f32_e64 v5, v5, 1.0                                  // 000000009590: D1010005 0001E505
	v_add_f32_e64 v6, v6, 1.0                                  // 000000009598: D1010006 0001E506
	v_add_f32_e64 v7, v7, 1.0                                  // 0000000095A0: D1010007 0001E507
	v_rcp_f32_e32 v4, v4                                       // 0000000095A8: 7E084504
	v_rcp_f32_e32 v5, v5                                       // 0000000095AC: 7E0A4505
	v_rcp_f32_e32 v6, v6                                       // 0000000095B0: 7E0C4506
	v_rcp_f32_e32 v7, v7                                       // 0000000095B4: 7E0E4507
	v_mul_f32_e32 v48, v48, v4                                 // 0000000095B8: 0A600930
	v_mul_f32_e32 v49, v49, v5                                 // 0000000095BC: 0A620B31
	v_mul_f32_e32 v50, v50, v6                                 // 0000000095C0: 0A640D32
	v_mul_f32_e32 v51, v51, v7                                 // 0000000095C4: 0A660F33
	v_mul_f32_e32 v48, v48, v80                                // 0000000095C8: 0A60A130
	v_mul_f32_e32 v49, v49, v81                                // 0000000095CC: 0A62A331
	v_mul_f32_e32 v50, v50, v82                                // 0000000095D0: 0A64A532
	v_mul_f32_e32 v51, v51, v83                                // 0000000095D4: 0A66A733
	v_pk_mul_f32 v[4:5], v[52:53], v[52:53]                    // 0000000095D8: D3B14004 18026934
	v_pk_mul_f32 v[6:7], v[54:55], v[54:55]                    // 0000000095E0: D3B14006 18026D36
	v_pk_fma_f32 v[4:5], v[4:5], s[78:79], v[8:9]              // 0000000095E8: D3B04004 1C209D04
	v_pk_fma_f32 v[6:7], v[6:7], s[78:79], v[8:9]              // 0000000095F0: D3B04006 1C209D06
	v_pk_mul_f32 v[4:5], v[4:5], v[52:53]                      // 0000000095F8: D3B14004 18026904
	v_pk_mul_f32 v[6:7], v[6:7], v[54:55]                      // 000000009600: D3B14006 18026D06
	v_pk_mul_f32 v[4:5], v[4:5], s[60:61]                      // 000000009608: D3B14004 18007904
	v_pk_mul_f32 v[6:7], v[6:7], s[60:61]                      // 000000009610: D3B14006 18007906
	v_exp_f32_e32 v4, v4                                       // 000000009618: 7E084104
	v_exp_f32_e32 v5, v5                                       // 00000000961C: 7E0A4105
	v_exp_f32_e32 v6, v6                                       // 000000009620: 7E0C4106
	v_exp_f32_e32 v7, v7                                       // 000000009624: 7E0E4107
	v_add_f32_e64 v4, v4, 1.0                                  // 000000009628: D1010004 0001E504
	v_add_f32_e64 v5, v5, 1.0                                  // 000000009630: D1010005 0001E505
	v_add_f32_e64 v6, v6, 1.0                                  // 000000009638: D1010006 0001E506
	v_add_f32_e64 v7, v7, 1.0                                  // 000000009640: D1010007 0001E507
	v_rcp_f32_e32 v4, v4                                       // 000000009648: 7E084504
	v_rcp_f32_e32 v5, v5                                       // 00000000964C: 7E0A4505
	v_rcp_f32_e32 v6, v6                                       // 000000009650: 7E0C4506
	v_rcp_f32_e32 v7, v7                                       // 000000009654: 7E0E4507
	v_mul_f32_e32 v52, v52, v4                                 // 000000009658: 0A680934
	v_mul_f32_e32 v53, v53, v5                                 // 00000000965C: 0A6A0B35
	v_mul_f32_e32 v54, v54, v6                                 // 000000009660: 0A6C0D36
	v_mul_f32_e32 v55, v55, v7                                 // 000000009664: 0A6E0F37
	v_mul_f32_e32 v52, v52, v84                                // 000000009668: 0A68A934
	v_mul_f32_e32 v53, v53, v85                                // 00000000966C: 0A6AAB35
	v_mul_f32_e32 v54, v54, v86                                // 000000009670: 0A6CAD36
	v_mul_f32_e32 v55, v55, v87                                // 000000009674: 0A6EAF37
	v_pk_mul_f32 v[4:5], v[56:57], v[56:57]                    // 000000009678: D3B14004 18027138
	v_pk_mul_f32 v[6:7], v[58:59], v[58:59]                    // 000000009680: D3B14006 1802753A
	v_pk_fma_f32 v[4:5], v[4:5], s[78:79], v[8:9]              // 000000009688: D3B04004 1C209D04
	v_pk_fma_f32 v[6:7], v[6:7], s[78:79], v[8:9]              // 000000009690: D3B04006 1C209D06
	v_pk_mul_f32 v[4:5], v[4:5], v[56:57]                      // 000000009698: D3B14004 18027104
	v_pk_mul_f32 v[6:7], v[6:7], v[58:59]                      // 0000000096A0: D3B14006 18027506
	v_pk_mul_f32 v[4:5], v[4:5], s[60:61]                      // 0000000096A8: D3B14004 18007904
	v_pk_mul_f32 v[6:7], v[6:7], s[60:61]                      // 0000000096B0: D3B14006 18007906
	v_exp_f32_e32 v4, v4                                       // 0000000096B8: 7E084104
	v_exp_f32_e32 v5, v5                                       // 0000000096BC: 7E0A4105
	v_exp_f32_e32 v6, v6                                       // 0000000096C0: 7E0C4106
	v_exp_f32_e32 v7, v7                                       // 0000000096C4: 7E0E4107
	v_add_f32_e64 v4, v4, 1.0                                  // 0000000096C8: D1010004 0001E504
	v_add_f32_e64 v5, v5, 1.0                                  // 0000000096D0: D1010005 0001E505
	v_add_f32_e64 v6, v6, 1.0                                  // 0000000096D8: D1010006 0001E506
	v_add_f32_e64 v7, v7, 1.0                                  // 0000000096E0: D1010007 0001E507
	v_rcp_f32_e32 v4, v4                                       // 0000000096E8: 7E084504
	v_rcp_f32_e32 v5, v5                                       // 0000000096EC: 7E0A4505
	v_rcp_f32_e32 v6, v6                                       // 0000000096F0: 7E0C4506
	v_rcp_f32_e32 v7, v7                                       // 0000000096F4: 7E0E4507
	v_mul_f32_e32 v56, v56, v4                                 // 0000000096F8: 0A700938
	v_mul_f32_e32 v57, v57, v5                                 // 0000000096FC: 0A720B39
	v_mul_f32_e32 v58, v58, v6                                 // 000000009700: 0A740D3A
	v_mul_f32_e32 v59, v59, v7                                 // 000000009704: 0A760F3B
	v_mul_f32_e32 v56, v56, v88                                // 000000009708: 0A70B138
	v_mul_f32_e32 v57, v57, v89                                // 00000000970C: 0A72B339
	v_mul_f32_e32 v58, v58, v90                                // 000000009710: 0A74B53A
	v_mul_f32_e32 v59, v59, v91                                // 000000009714: 0A76B73B
	v_pk_mul_f32 v[4:5], v[60:61], v[60:61]                    // 000000009718: D3B14004 1802793C
	v_pk_mul_f32 v[6:7], v[62:63], v[62:63]                    // 000000009720: D3B14006 18027D3E
	v_pk_fma_f32 v[4:5], v[4:5], s[78:79], v[8:9]              // 000000009728: D3B04004 1C209D04
	v_pk_fma_f32 v[6:7], v[6:7], s[78:79], v[8:9]              // 000000009730: D3B04006 1C209D06
	v_pk_mul_f32 v[4:5], v[4:5], v[60:61]                      // 000000009738: D3B14004 18027904
	v_pk_mul_f32 v[6:7], v[6:7], v[62:63]                      // 000000009740: D3B14006 18027D06
	v_pk_mul_f32 v[4:5], v[4:5], s[60:61]                      // 000000009748: D3B14004 18007904
	v_pk_mul_f32 v[6:7], v[6:7], s[60:61]                      // 000000009750: D3B14006 18007906
	v_exp_f32_e32 v4, v4                                       // 000000009758: 7E084104
	v_exp_f32_e32 v5, v5                                       // 00000000975C: 7E0A4105
	v_exp_f32_e32 v6, v6                                       // 000000009760: 7E0C4106
	v_exp_f32_e32 v7, v7                                       // 000000009764: 7E0E4107
	v_add_f32_e64 v4, v4, 1.0                                  // 000000009768: D1010004 0001E504
	v_add_f32_e64 v5, v5, 1.0                                  // 000000009770: D1010005 0001E505
	v_add_f32_e64 v6, v6, 1.0                                  // 000000009778: D1010006 0001E506
	v_add_f32_e64 v7, v7, 1.0                                  // 000000009780: D1010007 0001E507
	v_rcp_f32_e32 v4, v4                                       // 000000009788: 7E084504
	v_rcp_f32_e32 v5, v5                                       // 00000000978C: 7E0A4505
	v_rcp_f32_e32 v6, v6                                       // 000000009790: 7E0C4506
	v_rcp_f32_e32 v7, v7                                       // 000000009794: 7E0E4507
	v_mul_f32_e32 v60, v60, v4                                 // 000000009798: 0A78093C
	v_mul_f32_e32 v61, v61, v5                                 // 00000000979C: 0A7A0B3D
	v_mul_f32_e32 v62, v62, v6                                 // 0000000097A0: 0A7C0D3E
	v_mul_f32_e32 v63, v63, v7                                 // 0000000097A4: 0A7E0F3F
	v_mul_f32_e32 v60, v60, v92                                // 0000000097A8: 0A78B93C
	v_mul_f32_e32 v61, v61, v93                                // 0000000097AC: 0A7ABB3D
	v_mul_f32_e32 v62, v62, v94                                // 0000000097B0: 0A7CBD3E
	v_mul_f32_e32 v63, v63, v95                                // 0000000097B4: 0A7EBF3F
	v_pk_mul_f32 v[4:5], v[64:65], v[64:65]                    // 0000000097B8: D3B14004 18028140
	v_pk_mul_f32 v[6:7], v[66:67], v[66:67]                    // 0000000097C0: D3B14006 18028542
	v_pk_fma_f32 v[4:5], v[4:5], s[78:79], v[8:9]              // 0000000097C8: D3B04004 1C209D04
	v_pk_fma_f32 v[6:7], v[6:7], s[78:79], v[8:9]              // 0000000097D0: D3B04006 1C209D06
	v_pk_mul_f32 v[4:5], v[4:5], v[64:65]                      // 0000000097D8: D3B14004 18028104
	v_pk_mul_f32 v[6:7], v[6:7], v[66:67]                      // 0000000097E0: D3B14006 18028506
	v_pk_mul_f32 v[4:5], v[4:5], s[60:61]                      // 0000000097E8: D3B14004 18007904
	v_pk_mul_f32 v[6:7], v[6:7], s[60:61]                      // 0000000097F0: D3B14006 18007906
	v_exp_f32_e32 v4, v4                                       // 0000000097F8: 7E084104
	v_exp_f32_e32 v5, v5                                       // 0000000097FC: 7E0A4105
	v_exp_f32_e32 v6, v6                                       // 000000009800: 7E0C4106
	v_exp_f32_e32 v7, v7                                       // 000000009804: 7E0E4107
	v_add_f32_e64 v4, v4, 1.0                                  // 000000009808: D1010004 0001E504
	v_add_f32_e64 v5, v5, 1.0                                  // 000000009810: D1010005 0001E505
	v_add_f32_e64 v6, v6, 1.0                                  // 000000009818: D1010006 0001E506
	v_add_f32_e64 v7, v7, 1.0                                  // 000000009820: D1010007 0001E507
	v_rcp_f32_e32 v4, v4                                       // 000000009828: 7E084504
	v_rcp_f32_e32 v5, v5                                       // 00000000982C: 7E0A4505
	v_rcp_f32_e32 v6, v6                                       // 000000009830: 7E0C4506
	v_rcp_f32_e32 v7, v7                                       // 000000009834: 7E0E4507
	v_mul_f32_e32 v64, v64, v4                                 // 000000009838: 0A800940
	v_mul_f32_e32 v65, v65, v5                                 // 00000000983C: 0A820B41
	v_mul_f32_e32 v66, v66, v6                                 // 000000009840: 0A840D42
	v_mul_f32_e32 v67, v67, v7                                 // 000000009844: 0A860F43
	v_mul_f32_e32 v64, v64, v96                                // 000000009848: 0A80C140
	v_mul_f32_e32 v65, v65, v97                                // 00000000984C: 0A82C341
	v_mul_f32_e32 v66, v66, v98                                // 000000009850: 0A84C542
	v_mul_f32_e32 v67, v67, v99                                // 000000009854: 0A86C743
	v_pk_mul_f32 v[4:5], v[68:69], v[68:69]                    // 000000009858: D3B14004 18028944
	v_pk_mul_f32 v[6:7], v[70:71], v[70:71]                    // 000000009860: D3B14006 18028D46
	v_pk_fma_f32 v[4:5], v[4:5], s[78:79], v[8:9]              // 000000009868: D3B04004 1C209D04
	v_pk_fma_f32 v[6:7], v[6:7], s[78:79], v[8:9]              // 000000009870: D3B04006 1C209D06
	v_pk_mul_f32 v[4:5], v[4:5], v[68:69]                      // 000000009878: D3B14004 18028904
	v_pk_mul_f32 v[6:7], v[6:7], v[70:71]                      // 000000009880: D3B14006 18028D06
	v_pk_mul_f32 v[4:5], v[4:5], s[60:61]                      // 000000009888: D3B14004 18007904
	v_pk_mul_f32 v[6:7], v[6:7], s[60:61]                      // 000000009890: D3B14006 18007906
	v_exp_f32_e32 v4, v4                                       // 000000009898: 7E084104
	v_exp_f32_e32 v5, v5                                       // 00000000989C: 7E0A4105
	v_exp_f32_e32 v6, v6                                       // 0000000098A0: 7E0C4106
	v_exp_f32_e32 v7, v7                                       // 0000000098A4: 7E0E4107
	v_add_f32_e64 v4, v4, 1.0                                  // 0000000098A8: D1010004 0001E504
	v_add_f32_e64 v5, v5, 1.0                                  // 0000000098B0: D1010005 0001E505
	v_add_f32_e64 v6, v6, 1.0                                  // 0000000098B8: D1010006 0001E506
	v_add_f32_e64 v7, v7, 1.0                                  // 0000000098C0: D1010007 0001E507
	v_rcp_f32_e32 v4, v4                                       // 0000000098C8: 7E084504
	v_rcp_f32_e32 v5, v5                                       // 0000000098CC: 7E0A4505
	v_rcp_f32_e32 v6, v6                                       // 0000000098D0: 7E0C4506
	v_rcp_f32_e32 v7, v7                                       // 0000000098D4: 7E0E4507
	v_mul_f32_e32 v68, v68, v4                                 // 0000000098D8: 0A880944
	v_mul_f32_e32 v69, v69, v5                                 // 0000000098DC: 0A8A0B45
	v_mul_f32_e32 v70, v70, v6                                 // 0000000098E0: 0A8C0D46
	v_mul_f32_e32 v71, v71, v7                                 // 0000000098E4: 0A8E0F47
	v_mul_f32_e32 v68, v68, v100                               // 0000000098E8: 0A88C944
	v_mul_f32_e32 v69, v69, v101                               // 0000000098EC: 0A8ACB45
	v_mul_f32_e32 v70, v70, v102                               // 0000000098F0: 0A8CCD46
	v_mul_f32_e32 v71, v71, v103                               // 0000000098F4: 0A8ECF47
	v_pk_mul_f32 v[4:5], v[72:73], v[72:73]                    // 0000000098F8: D3B14004 18029148
	v_pk_mul_f32 v[6:7], v[74:75], v[74:75]                    // 000000009900: D3B14006 1802954A
	v_pk_fma_f32 v[4:5], v[4:5], s[78:79], v[8:9]              // 000000009908: D3B04004 1C209D04
	v_pk_fma_f32 v[6:7], v[6:7], s[78:79], v[8:9]              // 000000009910: D3B04006 1C209D06
	v_pk_mul_f32 v[4:5], v[4:5], v[72:73]                      // 000000009918: D3B14004 18029104
	v_pk_mul_f32 v[6:7], v[6:7], v[74:75]                      // 000000009920: D3B14006 18029506
	v_pk_mul_f32 v[4:5], v[4:5], s[60:61]                      // 000000009928: D3B14004 18007904
	v_pk_mul_f32 v[6:7], v[6:7], s[60:61]                      // 000000009930: D3B14006 18007906
	v_exp_f32_e32 v4, v4                                       // 000000009938: 7E084104
	v_exp_f32_e32 v5, v5                                       // 00000000993C: 7E0A4105
	v_exp_f32_e32 v6, v6                                       // 000000009940: 7E0C4106
	v_exp_f32_e32 v7, v7                                       // 000000009944: 7E0E4107
	v_add_f32_e64 v4, v4, 1.0                                  // 000000009948: D1010004 0001E504
	v_add_f32_e64 v5, v5, 1.0                                  // 000000009950: D1010005 0001E505
	v_add_f32_e64 v6, v6, 1.0                                  // 000000009958: D1010006 0001E506
	v_add_f32_e64 v7, v7, 1.0                                  // 000000009960: D1010007 0001E507
	v_rcp_f32_e32 v4, v4                                       // 000000009968: 7E084504
	v_rcp_f32_e32 v5, v5                                       // 00000000996C: 7E0A4505
	v_rcp_f32_e32 v6, v6                                       // 000000009970: 7E0C4506
	v_rcp_f32_e32 v7, v7                                       // 000000009974: 7E0E4507
	v_mul_f32_e32 v72, v72, v4                                 // 000000009978: 0A900948
	v_mul_f32_e32 v73, v73, v5                                 // 00000000997C: 0A920B49
	v_mul_f32_e32 v74, v74, v6                                 // 000000009980: 0A940D4A
	v_mul_f32_e32 v75, v75, v7                                 // 000000009984: 0A960F4B
	v_mul_f32_e32 v72, v72, v104                               // 000000009988: 0A90D148
	v_mul_f32_e32 v73, v73, v105                               // 00000000998C: 0A92D349
	v_mul_f32_e32 v74, v74, v106                               // 000000009990: 0A94D54A
	v_mul_f32_e32 v75, v75, v107                               // 000000009994: 0A96D74B
	v_pk_mul_f32 v[4:5], v[76:77], v[76:77]                    // 000000009998: D3B14004 1802994C
	v_pk_mul_f32 v[6:7], v[78:79], v[78:79]                    // 0000000099A0: D3B14006 18029D4E
	v_pk_fma_f32 v[4:5], v[4:5], s[78:79], v[8:9]              // 0000000099A8: D3B04004 1C209D04
	v_pk_fma_f32 v[6:7], v[6:7], s[78:79], v[8:9]              // 0000000099B0: D3B04006 1C209D06
	v_pk_mul_f32 v[4:5], v[4:5], v[76:77]                      // 0000000099B8: D3B14004 18029904
	v_pk_mul_f32 v[6:7], v[6:7], v[78:79]                      // 0000000099C0: D3B14006 18029D06
	v_pk_mul_f32 v[4:5], v[4:5], s[60:61]                      // 0000000099C8: D3B14004 18007904
	v_pk_mul_f32 v[6:7], v[6:7], s[60:61]                      // 0000000099D0: D3B14006 18007906
	v_exp_f32_e32 v4, v4                                       // 0000000099D8: 7E084104
	v_exp_f32_e32 v5, v5                                       // 0000000099DC: 7E0A4105
	v_exp_f32_e32 v6, v6                                       // 0000000099E0: 7E0C4106
	v_exp_f32_e32 v7, v7                                       // 0000000099E4: 7E0E4107
	v_add_f32_e64 v4, v4, 1.0                                  // 0000000099E8: D1010004 0001E504
	v_add_f32_e64 v5, v5, 1.0                                  // 0000000099F0: D1010005 0001E505
	v_add_f32_e64 v6, v6, 1.0                                  // 0000000099F8: D1010006 0001E506
	v_add_f32_e64 v7, v7, 1.0                                  // 000000009A00: D1010007 0001E507
	v_rcp_f32_e32 v4, v4                                       // 000000009A08: 7E084504
	v_rcp_f32_e32 v5, v5                                       // 000000009A0C: 7E0A4505
	v_rcp_f32_e32 v6, v6                                       // 000000009A10: 7E0C4506
	v_rcp_f32_e32 v7, v7                                       // 000000009A14: 7E0E4507
	v_mul_f32_e32 v76, v76, v4                                 // 000000009A18: 0A98094C
	v_mul_f32_e32 v77, v77, v5                                 // 000000009A1C: 0A9A0B4D
	v_mul_f32_e32 v78, v78, v6                                 // 000000009A20: 0A9C0D4E
	v_mul_f32_e32 v79, v79, v7                                 // 000000009A24: 0A9E0F4F
	v_mul_f32_e32 v76, v76, v108                               // 000000009A28: 0A98D94C
	v_mul_f32_e32 v77, v77, v109                               // 000000009A2C: 0A9ADB4D
	v_mul_f32_e32 v78, v78, v110                               // 000000009A30: 0A9CDD4E
	v_mul_f32_e32 v79, v79, v111                               // 000000009A34: 0A9EDF4F
	s_branch label_1D12                                        // 000000009A38: BF820100

0000000000009a3c <label_1C12>:
	v_mul_f32_e64 v4, -v48, s6                                 // 000000009A3C: D1050004 20000D30
	v_mul_f32_e64 v5, -v49, s6                                 // 000000009A44: D1050005 20000D31
	v_mul_f32_e64 v6, -v50, s6                                 // 000000009A4C: D1050006 20000D32
	v_mul_f32_e64 v7, -v51, s6                                 // 000000009A54: D1050007 20000D33
	v_exp_f32_e32 v4, v4                                       // 000000009A5C: 7E084104
	v_exp_f32_e32 v5, v5                                       // 000000009A60: 7E0A4105
	v_exp_f32_e32 v6, v6                                       // 000000009A64: 7E0C4106
	v_exp_f32_e32 v7, v7                                       // 000000009A68: 7E0E4107
	v_add_f32_e64 v4, v4, 1.0                                  // 000000009A6C: D1010004 0001E504
	v_add_f32_e64 v5, v5, 1.0                                  // 000000009A74: D1010005 0001E505
	v_add_f32_e64 v6, v6, 1.0                                  // 000000009A7C: D1010006 0001E506
	v_add_f32_e64 v7, v7, 1.0                                  // 000000009A84: D1010007 0001E507
	v_rcp_f32_e32 v4, v4                                       // 000000009A8C: 7E084504
	v_rcp_f32_e32 v5, v5                                       // 000000009A90: 7E0A4505
	v_rcp_f32_e32 v6, v6                                       // 000000009A94: 7E0C4506
	v_rcp_f32_e32 v7, v7                                       // 000000009A98: 7E0E4507
	v_mul_f32_e32 v48, v48, v4                                 // 000000009A9C: 0A600930
	v_mul_f32_e32 v49, v49, v5                                 // 000000009AA0: 0A620B31
	v_mul_f32_e32 v50, v50, v6                                 // 000000009AA4: 0A640D32
	v_mul_f32_e32 v51, v51, v7                                 // 000000009AA8: 0A660F33
	v_mul_f32_e32 v48, v48, v80                                // 000000009AAC: 0A60A130
	v_mul_f32_e32 v49, v49, v81                                // 000000009AB0: 0A62A331
	v_mul_f32_e32 v50, v50, v82                                // 000000009AB4: 0A64A532
	v_mul_f32_e32 v51, v51, v83                                // 000000009AB8: 0A66A733
	v_mul_f32_e64 v4, -v52, s6                                 // 000000009ABC: D1050004 20000D34
	v_mul_f32_e64 v5, -v53, s6                                 // 000000009AC4: D1050005 20000D35
	v_mul_f32_e64 v6, -v54, s6                                 // 000000009ACC: D1050006 20000D36
	v_mul_f32_e64 v7, -v55, s6                                 // 000000009AD4: D1050007 20000D37
	v_exp_f32_e32 v4, v4                                       // 000000009ADC: 7E084104
	v_exp_f32_e32 v5, v5                                       // 000000009AE0: 7E0A4105
	v_exp_f32_e32 v6, v6                                       // 000000009AE4: 7E0C4106
	v_exp_f32_e32 v7, v7                                       // 000000009AE8: 7E0E4107
	v_add_f32_e64 v4, v4, 1.0                                  // 000000009AEC: D1010004 0001E504
	v_add_f32_e64 v5, v5, 1.0                                  // 000000009AF4: D1010005 0001E505
	v_add_f32_e64 v6, v6, 1.0                                  // 000000009AFC: D1010006 0001E506
	v_add_f32_e64 v7, v7, 1.0                                  // 000000009B04: D1010007 0001E507
	v_rcp_f32_e32 v4, v4                                       // 000000009B0C: 7E084504
	v_rcp_f32_e32 v5, v5                                       // 000000009B10: 7E0A4505
	v_rcp_f32_e32 v6, v6                                       // 000000009B14: 7E0C4506
	v_rcp_f32_e32 v7, v7                                       // 000000009B18: 7E0E4507
	v_mul_f32_e32 v52, v52, v4                                 // 000000009B1C: 0A680934
	v_mul_f32_e32 v53, v53, v5                                 // 000000009B20: 0A6A0B35
	v_mul_f32_e32 v54, v54, v6                                 // 000000009B24: 0A6C0D36
	v_mul_f32_e32 v55, v55, v7                                 // 000000009B28: 0A6E0F37
	v_mul_f32_e32 v52, v52, v84                                // 000000009B2C: 0A68A934
	v_mul_f32_e32 v53, v53, v85                                // 000000009B30: 0A6AAB35
	v_mul_f32_e32 v54, v54, v86                                // 000000009B34: 0A6CAD36
	v_mul_f32_e32 v55, v55, v87                                // 000000009B38: 0A6EAF37
	v_mul_f32_e64 v4, -v56, s6                                 // 000000009B3C: D1050004 20000D38
	v_mul_f32_e64 v5, -v57, s6                                 // 000000009B44: D1050005 20000D39
	v_mul_f32_e64 v6, -v58, s6                                 // 000000009B4C: D1050006 20000D3A
	v_mul_f32_e64 v7, -v59, s6                                 // 000000009B54: D1050007 20000D3B
	v_exp_f32_e32 v4, v4                                       // 000000009B5C: 7E084104
	v_exp_f32_e32 v5, v5                                       // 000000009B60: 7E0A4105
	v_exp_f32_e32 v6, v6                                       // 000000009B64: 7E0C4106
	v_exp_f32_e32 v7, v7                                       // 000000009B68: 7E0E4107
	v_add_f32_e64 v4, v4, 1.0                                  // 000000009B6C: D1010004 0001E504
	v_add_f32_e64 v5, v5, 1.0                                  // 000000009B74: D1010005 0001E505
	v_add_f32_e64 v6, v6, 1.0                                  // 000000009B7C: D1010006 0001E506
	v_add_f32_e64 v7, v7, 1.0                                  // 000000009B84: D1010007 0001E507
	v_rcp_f32_e32 v4, v4                                       // 000000009B8C: 7E084504
	v_rcp_f32_e32 v5, v5                                       // 000000009B90: 7E0A4505
	v_rcp_f32_e32 v6, v6                                       // 000000009B94: 7E0C4506
	v_rcp_f32_e32 v7, v7                                       // 000000009B98: 7E0E4507
	v_mul_f32_e32 v56, v56, v4                                 // 000000009B9C: 0A700938
	v_mul_f32_e32 v57, v57, v5                                 // 000000009BA0: 0A720B39
	v_mul_f32_e32 v58, v58, v6                                 // 000000009BA4: 0A740D3A
	v_mul_f32_e32 v59, v59, v7                                 // 000000009BA8: 0A760F3B
	v_mul_f32_e32 v56, v56, v88                                // 000000009BAC: 0A70B138
	v_mul_f32_e32 v57, v57, v89                                // 000000009BB0: 0A72B339
	v_mul_f32_e32 v58, v58, v90                                // 000000009BB4: 0A74B53A
	v_mul_f32_e32 v59, v59, v91                                // 000000009BB8: 0A76B73B
	v_mul_f32_e64 v4, -v60, s6                                 // 000000009BBC: D1050004 20000D3C
	v_mul_f32_e64 v5, -v61, s6                                 // 000000009BC4: D1050005 20000D3D
	v_mul_f32_e64 v6, -v62, s6                                 // 000000009BCC: D1050006 20000D3E
	v_mul_f32_e64 v7, -v63, s6                                 // 000000009BD4: D1050007 20000D3F
	v_exp_f32_e32 v4, v4                                       // 000000009BDC: 7E084104
	v_exp_f32_e32 v5, v5                                       // 000000009BE0: 7E0A4105
	v_exp_f32_e32 v6, v6                                       // 000000009BE4: 7E0C4106
	v_exp_f32_e32 v7, v7                                       // 000000009BE8: 7E0E4107
	v_add_f32_e64 v4, v4, 1.0                                  // 000000009BEC: D1010004 0001E504
	v_add_f32_e64 v5, v5, 1.0                                  // 000000009BF4: D1010005 0001E505
	v_add_f32_e64 v6, v6, 1.0                                  // 000000009BFC: D1010006 0001E506
	v_add_f32_e64 v7, v7, 1.0                                  // 000000009C04: D1010007 0001E507
	v_rcp_f32_e32 v4, v4                                       // 000000009C0C: 7E084504
	v_rcp_f32_e32 v5, v5                                       // 000000009C10: 7E0A4505
	v_rcp_f32_e32 v6, v6                                       // 000000009C14: 7E0C4506
	v_rcp_f32_e32 v7, v7                                       // 000000009C18: 7E0E4507
	v_mul_f32_e32 v60, v60, v4                                 // 000000009C1C: 0A78093C
	v_mul_f32_e32 v61, v61, v5                                 // 000000009C20: 0A7A0B3D
	v_mul_f32_e32 v62, v62, v6                                 // 000000009C24: 0A7C0D3E
	v_mul_f32_e32 v63, v63, v7                                 // 000000009C28: 0A7E0F3F
	v_mul_f32_e32 v60, v60, v92                                // 000000009C2C: 0A78B93C
	v_mul_f32_e32 v61, v61, v93                                // 000000009C30: 0A7ABB3D
	v_mul_f32_e32 v62, v62, v94                                // 000000009C34: 0A7CBD3E
	v_mul_f32_e32 v63, v63, v95                                // 000000009C38: 0A7EBF3F
	v_mul_f32_e64 v4, -v64, s6                                 // 000000009C3C: D1050004 20000D40
	v_mul_f32_e64 v5, -v65, s6                                 // 000000009C44: D1050005 20000D41
	v_mul_f32_e64 v6, -v66, s6                                 // 000000009C4C: D1050006 20000D42
	v_mul_f32_e64 v7, -v67, s6                                 // 000000009C54: D1050007 20000D43
	v_exp_f32_e32 v4, v4                                       // 000000009C5C: 7E084104
	v_exp_f32_e32 v5, v5                                       // 000000009C60: 7E0A4105
	v_exp_f32_e32 v6, v6                                       // 000000009C64: 7E0C4106
	v_exp_f32_e32 v7, v7                                       // 000000009C68: 7E0E4107
	v_add_f32_e64 v4, v4, 1.0                                  // 000000009C6C: D1010004 0001E504
	v_add_f32_e64 v5, v5, 1.0                                  // 000000009C74: D1010005 0001E505
	v_add_f32_e64 v6, v6, 1.0                                  // 000000009C7C: D1010006 0001E506
	v_add_f32_e64 v7, v7, 1.0                                  // 000000009C84: D1010007 0001E507
	v_rcp_f32_e32 v4, v4                                       // 000000009C8C: 7E084504
	v_rcp_f32_e32 v5, v5                                       // 000000009C90: 7E0A4505
	v_rcp_f32_e32 v6, v6                                       // 000000009C94: 7E0C4506
	v_rcp_f32_e32 v7, v7                                       // 000000009C98: 7E0E4507
	v_mul_f32_e32 v64, v64, v4                                 // 000000009C9C: 0A800940
	v_mul_f32_e32 v65, v65, v5                                 // 000000009CA0: 0A820B41
	v_mul_f32_e32 v66, v66, v6                                 // 000000009CA4: 0A840D42
	v_mul_f32_e32 v67, v67, v7                                 // 000000009CA8: 0A860F43
	v_mul_f32_e32 v64, v64, v96                                // 000000009CAC: 0A80C140
	v_mul_f32_e32 v65, v65, v97                                // 000000009CB0: 0A82C341
	v_mul_f32_e32 v66, v66, v98                                // 000000009CB4: 0A84C542
	v_mul_f32_e32 v67, v67, v99                                // 000000009CB8: 0A86C743
	v_mul_f32_e64 v4, -v68, s6                                 // 000000009CBC: D1050004 20000D44
	v_mul_f32_e64 v5, -v69, s6                                 // 000000009CC4: D1050005 20000D45
	v_mul_f32_e64 v6, -v70, s6                                 // 000000009CCC: D1050006 20000D46
	v_mul_f32_e64 v7, -v71, s6                                 // 000000009CD4: D1050007 20000D47
	v_exp_f32_e32 v4, v4                                       // 000000009CDC: 7E084104
	v_exp_f32_e32 v5, v5                                       // 000000009CE0: 7E0A4105
	v_exp_f32_e32 v6, v6                                       // 000000009CE4: 7E0C4106
	v_exp_f32_e32 v7, v7                                       // 000000009CE8: 7E0E4107
	v_add_f32_e64 v4, v4, 1.0                                  // 000000009CEC: D1010004 0001E504
	v_add_f32_e64 v5, v5, 1.0                                  // 000000009CF4: D1010005 0001E505
	v_add_f32_e64 v6, v6, 1.0                                  // 000000009CFC: D1010006 0001E506
	v_add_f32_e64 v7, v7, 1.0                                  // 000000009D04: D1010007 0001E507
	v_rcp_f32_e32 v4, v4                                       // 000000009D0C: 7E084504
	v_rcp_f32_e32 v5, v5                                       // 000000009D10: 7E0A4505
	v_rcp_f32_e32 v6, v6                                       // 000000009D14: 7E0C4506
	v_rcp_f32_e32 v7, v7                                       // 000000009D18: 7E0E4507
	v_mul_f32_e32 v68, v68, v4                                 // 000000009D1C: 0A880944
	v_mul_f32_e32 v69, v69, v5                                 // 000000009D20: 0A8A0B45
	v_mul_f32_e32 v70, v70, v6                                 // 000000009D24: 0A8C0D46
	v_mul_f32_e32 v71, v71, v7                                 // 000000009D28: 0A8E0F47
	v_mul_f32_e32 v68, v68, v100                               // 000000009D2C: 0A88C944
	v_mul_f32_e32 v69, v69, v101                               // 000000009D30: 0A8ACB45
	v_mul_f32_e32 v70, v70, v102                               // 000000009D34: 0A8CCD46
	v_mul_f32_e32 v71, v71, v103                               // 000000009D38: 0A8ECF47
	v_mul_f32_e64 v4, -v72, s6                                 // 000000009D3C: D1050004 20000D48
	v_mul_f32_e64 v5, -v73, s6                                 // 000000009D44: D1050005 20000D49
	v_mul_f32_e64 v6, -v74, s6                                 // 000000009D4C: D1050006 20000D4A
	v_mul_f32_e64 v7, -v75, s6                                 // 000000009D54: D1050007 20000D4B
	v_exp_f32_e32 v4, v4                                       // 000000009D5C: 7E084104
	v_exp_f32_e32 v5, v5                                       // 000000009D60: 7E0A4105
	v_exp_f32_e32 v6, v6                                       // 000000009D64: 7E0C4106
	v_exp_f32_e32 v7, v7                                       // 000000009D68: 7E0E4107
	v_add_f32_e64 v4, v4, 1.0                                  // 000000009D6C: D1010004 0001E504
	v_add_f32_e64 v5, v5, 1.0                                  // 000000009D74: D1010005 0001E505
	v_add_f32_e64 v6, v6, 1.0                                  // 000000009D7C: D1010006 0001E506
	v_add_f32_e64 v7, v7, 1.0                                  // 000000009D84: D1010007 0001E507
	v_rcp_f32_e32 v4, v4                                       // 000000009D8C: 7E084504
	v_rcp_f32_e32 v5, v5                                       // 000000009D90: 7E0A4505
	v_rcp_f32_e32 v6, v6                                       // 000000009D94: 7E0C4506
	v_rcp_f32_e32 v7, v7                                       // 000000009D98: 7E0E4507
	v_mul_f32_e32 v72, v72, v4                                 // 000000009D9C: 0A900948
	v_mul_f32_e32 v73, v73, v5                                 // 000000009DA0: 0A920B49
	v_mul_f32_e32 v74, v74, v6                                 // 000000009DA4: 0A940D4A
	v_mul_f32_e32 v75, v75, v7                                 // 000000009DA8: 0A960F4B
	v_mul_f32_e32 v72, v72, v104                               // 000000009DAC: 0A90D148
	v_mul_f32_e32 v73, v73, v105                               // 000000009DB0: 0A92D349
	v_mul_f32_e32 v74, v74, v106                               // 000000009DB4: 0A94D54A
	v_mul_f32_e32 v75, v75, v107                               // 000000009DB8: 0A96D74B
	v_mul_f32_e64 v4, -v76, s6                                 // 000000009DBC: D1050004 20000D4C
	v_mul_f32_e64 v5, -v77, s6                                 // 000000009DC4: D1050005 20000D4D
	v_mul_f32_e64 v6, -v78, s6                                 // 000000009DCC: D1050006 20000D4E
	v_mul_f32_e64 v7, -v79, s6                                 // 000000009DD4: D1050007 20000D4F
	v_exp_f32_e32 v4, v4                                       // 000000009DDC: 7E084104
	v_exp_f32_e32 v5, v5                                       // 000000009DE0: 7E0A4105
	v_exp_f32_e32 v6, v6                                       // 000000009DE4: 7E0C4106
	v_exp_f32_e32 v7, v7                                       // 000000009DE8: 7E0E4107
	v_add_f32_e64 v4, v4, 1.0                                  // 000000009DEC: D1010004 0001E504
	v_add_f32_e64 v5, v5, 1.0                                  // 000000009DF4: D1010005 0001E505
	v_add_f32_e64 v6, v6, 1.0                                  // 000000009DFC: D1010006 0001E506
	v_add_f32_e64 v7, v7, 1.0                                  // 000000009E04: D1010007 0001E507
	v_rcp_f32_e32 v4, v4                                       // 000000009E0C: 7E084504
	v_rcp_f32_e32 v5, v5                                       // 000000009E10: 7E0A4505
	v_rcp_f32_e32 v6, v6                                       // 000000009E14: 7E0C4506
	v_rcp_f32_e32 v7, v7                                       // 000000009E18: 7E0E4507
	v_mul_f32_e32 v76, v76, v4                                 // 000000009E1C: 0A98094C
	v_mul_f32_e32 v77, v77, v5                                 // 000000009E20: 0A9A0B4D
	v_mul_f32_e32 v78, v78, v6                                 // 000000009E24: 0A9C0D4E
	v_mul_f32_e32 v79, v79, v7                                 // 000000009E28: 0A9E0F4F
	v_mul_f32_e32 v76, v76, v108                               // 000000009E2C: 0A98D94C
	v_mul_f32_e32 v77, v77, v109                               // 000000009E30: 0A9ADB4D
	v_mul_f32_e32 v78, v78, v110                               // 000000009E34: 0A9CDD4E
	v_mul_f32_e32 v79, v79, v111                               // 000000009E38: 0A9EDF4F

0000000000009e3c <label_1D12>:
	s_cmp_eq_u32 s7, 0                                         // 000000009E3C: BF068007
	s_cbranch_scc0 label_1D1C                                  // 000000009E40: BF840008
	v_and_b32_e32 v4, 15, v0                                   // 000000009E44: 2608008F
	v_lshlrev_b32_e32 v4, 2, v4                                // 000000009E48: 24080882
	buffer_load_dword v30, v4, s[12:15], 0 offen               // 000000009E4C: E0501000 80031E04
	v_add_u32_e32 v4, 64, v4                                   // 000000009E54: 680808C0
	buffer_load_dword v31, v4, s[12:15], 0 offen               // 000000009E58: E0501000 80031F04
	v_add_u32_e32 v4, 64, v4                                   // 000000009E60: 680808C0

0000000000009e64 <label_1D1C>:
	v_lshlrev_b32_e32 v4, 2, v0                                // 000000009E64: 24080082
	s_mul_i32 s60, 0x100, s7                                   // 000000009E68: 923C07FF 00000100
	v_add_u32_e32 v84, s60, v4                                 // 000000009E70: 68A8083C
	v_and_b32_e32 v4, 15, v0                                   // 000000009E74: 2608008F
	v_lshlrev_b32_e32 v85, 2, v4                               // 000000009E78: 24AA0882
	s_waitcnt lgkmcnt(0)                                       // 000000009E7C: BF8CC07F
	s_barrier                                                  // 000000009E80: BF8A0000
	v_mov_b32_e32 v80, 0x358637bd                              // 000000009E84: 7EA002FF 358637BD
	v_max3_f32 v80, |v48|, |v49|, v80                          // 000000009E8C: D1D30350 05426330
	v_max3_f32 v80, |v50|, |v51|, v80                          // 000000009E94: D1D30350 05426732
	v_max3_f32 v80, |v56|, |v57|, v80                          // 000000009E9C: D1D30350 05427338
	v_max3_f32 v80, |v58|, |v59|, v80                          // 000000009EA4: D1D30350 0542773A
	ds_write_b32 v84, v80                                      // 000000009EAC: D81A0000 00005054
	s_waitcnt lgkmcnt(0)                                       // 000000009EB4: BF8CC07F
	s_barrier                                                  // 000000009EB8: BF8A0000
	ds_read_b32 v4, v85                                        // 000000009EBC: D86C0000 04000055
	ds_read_b32 v5, v85 offset:64                              // 000000009EC4: D86C0040 05000055
	ds_read_b32 v6, v85 offset:128                             // 000000009ECC: D86C0080 06000055
	ds_read_b32 v7, v85 offset:192                             // 000000009ED4: D86C00C0 07000055
	ds_read_b32 v8, v85 offset:256                             // 000000009EDC: D86C0100 08000055
	ds_read_b32 v9, v85 offset:320                             // 000000009EE4: D86C0140 09000055
	ds_read_b32 v10, v85 offset:384                            // 000000009EEC: D86C0180 0A000055
	ds_read_b32 v11, v85 offset:448                            // 000000009EF4: D86C01C0 0B000055
	ds_read_b32 v12, v85 offset:512                            // 000000009EFC: D86C0200 0C000055
	ds_read_b32 v13, v85 offset:576                            // 000000009F04: D86C0240 0D000055
	ds_read_b32 v14, v85 offset:640                            // 000000009F0C: D86C0280 0E000055
	ds_read_b32 v15, v85 offset:704                            // 000000009F14: D86C02C0 0F000055
	ds_read_b32 v16, v85 offset:768                            // 000000009F1C: D86C0300 10000055
	ds_read_b32 v17, v85 offset:832                            // 000000009F24: D86C0340 11000055
	ds_read_b32 v18, v85 offset:896                            // 000000009F2C: D86C0380 12000055
	ds_read_b32 v19, v85 offset:960                            // 000000009F34: D86C03C0 13000055
	s_waitcnt lgkmcnt(0)                                       // 000000009F3C: BF8CC07F
	s_barrier                                                  // 000000009F40: BF8A0000
	v_max3_f32 v80, |v4|, |v5|, v80                            // 000000009F44: D1D30350 05420B04
	v_max3_f32 v80, |v6|, |v7|, v80                            // 000000009F4C: D1D30350 05420F06
	v_max3_f32 v80, |v8|, |v9|, v80                            // 000000009F54: D1D30350 05421308
	v_max3_f32 v80, |v10|, |v11|, v80                          // 000000009F5C: D1D30350 0542170A
	v_max3_f32 v80, |v12|, |v13|, v80                          // 000000009F64: D1D30350 05421B0C
	v_max3_f32 v80, |v14|, |v15|, v80                          // 000000009F6C: D1D30350 05421F0E
	v_max3_f32 v80, |v16|, |v17|, v80                          // 000000009F74: D1D30350 05422310
	v_max3_f32 v80, |v18|, |v19|, v80                          // 000000009F7C: D1D30350 05422712
	v_rcp_f32_e32 v80, v80                                     // 000000009F84: 7EA04550
	v_mov_b32_e32 v4, 0x43700000                               // 000000009F88: 7E0802FF 43700000
	v_mul_f32_e32 v80, v4, v80                                 // 000000009F90: 0AA0A104
	v_mov_b32_e32 v4, v80                                      // 000000009F94: 7E080350
	v_mov_b32_e32 v5, v4                                       // 000000009F98: 7E0A0304
	v_pk_mul_f32 v[48:49], v[4:5], v[48:49]                    // 000000009F9C: D3B14030 18026104
	v_pk_mul_f32 v[50:51], v[4:5], v[50:51]                    // 000000009FA4: D3B14032 18026504
	v_cvt_pk_fp8_f32 v48, v48, v49                             // 000000009FAC: D2A20030 00026330
	v_cvt_pk_fp8_f32 v48, v50, v51 op_sel:[0,0,1]              // 000000009FB4: D2A24030 00026732
	v_pk_mul_f32 v[56:57], v[4:5], v[56:57]                    // 000000009FBC: D3B14038 18027104
	v_pk_mul_f32 v[58:59], v[4:5], v[58:59]                    // 000000009FC4: D3B1403A 18027504
	v_cvt_pk_fp8_f32 v56, v56, v57                             // 000000009FCC: D2A20038 00027338
	v_cvt_pk_fp8_f32 v56, v58, v59 op_sel:[0,0,1]              // 000000009FD4: D2A24038 0002773A
	v_rcp_f32_e32 v80, v80                                     // 000000009FDC: 7EA04550
	v_mov_b32_e32 v82, 0x358637bd                              // 000000009FE0: 7EA402FF 358637BD
	v_max3_f32 v82, |v64|, |v65|, v82                          // 000000009FE8: D1D30352 054A8340
	v_max3_f32 v82, |v66|, |v67|, v82                          // 000000009FF0: D1D30352 054A8742
	v_max3_f32 v82, |v72|, |v73|, v82                          // 000000009FF8: D1D30352 054A9348
	v_max3_f32 v82, |v74|, |v75|, v82                          // 00000000A000: D1D30352 054A974A
	ds_write_b32 v84, v82                                      // 00000000A008: D81A0000 00005254
	s_waitcnt lgkmcnt(0)                                       // 00000000A010: BF8CC07F
	s_barrier                                                  // 00000000A014: BF8A0000
	ds_read_b32 v4, v85                                        // 00000000A018: D86C0000 04000055
	ds_read_b32 v5, v85 offset:64                              // 00000000A020: D86C0040 05000055
	ds_read_b32 v6, v85 offset:128                             // 00000000A028: D86C0080 06000055
	ds_read_b32 v7, v85 offset:192                             // 00000000A030: D86C00C0 07000055
	ds_read_b32 v8, v85 offset:256                             // 00000000A038: D86C0100 08000055
	ds_read_b32 v9, v85 offset:320                             // 00000000A040: D86C0140 09000055
	ds_read_b32 v10, v85 offset:384                            // 00000000A048: D86C0180 0A000055
	ds_read_b32 v11, v85 offset:448                            // 00000000A050: D86C01C0 0B000055
	ds_read_b32 v12, v85 offset:512                            // 00000000A058: D86C0200 0C000055
	ds_read_b32 v13, v85 offset:576                            // 00000000A060: D86C0240 0D000055
	ds_read_b32 v14, v85 offset:640                            // 00000000A068: D86C0280 0E000055
	ds_read_b32 v15, v85 offset:704                            // 00000000A070: D86C02C0 0F000055
	ds_read_b32 v16, v85 offset:768                            // 00000000A078: D86C0300 10000055
	ds_read_b32 v17, v85 offset:832                            // 00000000A080: D86C0340 11000055
	ds_read_b32 v18, v85 offset:896                            // 00000000A088: D86C0380 12000055
	ds_read_b32 v19, v85 offset:960                            // 00000000A090: D86C03C0 13000055
	s_waitcnt lgkmcnt(0)                                       // 00000000A098: BF8CC07F
	s_barrier                                                  // 00000000A09C: BF8A0000
	v_max3_f32 v82, |v4|, |v5|, v82                            // 00000000A0A0: D1D30352 054A0B04
	v_max3_f32 v82, |v6|, |v7|, v82                            // 00000000A0A8: D1D30352 054A0F06
	v_max3_f32 v82, |v8|, |v9|, v82                            // 00000000A0B0: D1D30352 054A1308
	v_max3_f32 v82, |v10|, |v11|, v82                          // 00000000A0B8: D1D30352 054A170A
	v_max3_f32 v82, |v12|, |v13|, v82                          // 00000000A0C0: D1D30352 054A1B0C
	v_max3_f32 v82, |v14|, |v15|, v82                          // 00000000A0C8: D1D30352 054A1F0E
	v_max3_f32 v82, |v16|, |v17|, v82                          // 00000000A0D0: D1D30352 054A2310
	v_max3_f32 v82, |v18|, |v19|, v82                          // 00000000A0D8: D1D30352 054A2712
	v_rcp_f32_e32 v82, v82                                     // 00000000A0E0: 7EA44552
	v_mov_b32_e32 v4, 0x43700000                               // 00000000A0E4: 7E0802FF 43700000
	v_mul_f32_e32 v82, v4, v82                                 // 00000000A0EC: 0AA4A504
	v_mov_b32_e32 v4, v82                                      // 00000000A0F0: 7E080352
	v_mov_b32_e32 v5, v4                                       // 00000000A0F4: 7E0A0304
	v_pk_mul_f32 v[64:65], v[4:5], v[64:65]                    // 00000000A0F8: D3B14040 18028104
	v_pk_mul_f32 v[66:67], v[4:5], v[66:67]                    // 00000000A100: D3B14042 18028504
	v_cvt_pk_fp8_f32 v64, v64, v65                             // 00000000A108: D2A20040 00028340
	v_cvt_pk_fp8_f32 v64, v66, v67 op_sel:[0,0,1]              // 00000000A110: D2A24040 00028742
	v_pk_mul_f32 v[72:73], v[4:5], v[72:73]                    // 00000000A118: D3B14048 18029104
	v_pk_mul_f32 v[74:75], v[4:5], v[74:75]                    // 00000000A120: D3B1404A 18029504
	v_cvt_pk_fp8_f32 v72, v72, v73                             // 00000000A128: D2A20048 00029348
	v_cvt_pk_fp8_f32 v72, v74, v75 op_sel:[0,0,1]              // 00000000A130: D2A24048 0002974A
	v_rcp_f32_e32 v82, v82                                     // 00000000A138: 7EA44552
	v_mov_b32_e32 v81, 0x358637bd                              // 00000000A13C: 7EA202FF 358637BD
	v_max3_f32 v81, |v52|, |v53|, v81                          // 00000000A144: D1D30351 05466B34
	v_max3_f32 v81, |v54|, |v55|, v81                          // 00000000A14C: D1D30351 05466F36
	v_max3_f32 v81, |v60|, |v61|, v81                          // 00000000A154: D1D30351 05467B3C
	v_max3_f32 v81, |v62|, |v63|, v81                          // 00000000A15C: D1D30351 05467F3E
	ds_write_b32 v84, v81                                      // 00000000A164: D81A0000 00005154
	s_waitcnt lgkmcnt(0)                                       // 00000000A16C: BF8CC07F
	s_barrier                                                  // 00000000A170: BF8A0000
	ds_read_b32 v4, v85                                        // 00000000A174: D86C0000 04000055
	ds_read_b32 v5, v85 offset:64                              // 00000000A17C: D86C0040 05000055
	ds_read_b32 v6, v85 offset:128                             // 00000000A184: D86C0080 06000055
	ds_read_b32 v7, v85 offset:192                             // 00000000A18C: D86C00C0 07000055
	ds_read_b32 v8, v85 offset:256                             // 00000000A194: D86C0100 08000055
	ds_read_b32 v9, v85 offset:320                             // 00000000A19C: D86C0140 09000055
	ds_read_b32 v10, v85 offset:384                            // 00000000A1A4: D86C0180 0A000055
	ds_read_b32 v11, v85 offset:448                            // 00000000A1AC: D86C01C0 0B000055
	ds_read_b32 v12, v85 offset:512                            // 00000000A1B4: D86C0200 0C000055
	ds_read_b32 v13, v85 offset:576                            // 00000000A1BC: D86C0240 0D000055
	ds_read_b32 v14, v85 offset:640                            // 00000000A1C4: D86C0280 0E000055
	ds_read_b32 v15, v85 offset:704                            // 00000000A1CC: D86C02C0 0F000055
	ds_read_b32 v16, v85 offset:768                            // 00000000A1D4: D86C0300 10000055
	ds_read_b32 v17, v85 offset:832                            // 00000000A1DC: D86C0340 11000055
	ds_read_b32 v18, v85 offset:896                            // 00000000A1E4: D86C0380 12000055
	ds_read_b32 v19, v85 offset:960                            // 00000000A1EC: D86C03C0 13000055
	s_waitcnt lgkmcnt(0)                                       // 00000000A1F4: BF8CC07F
	s_barrier                                                  // 00000000A1F8: BF8A0000
	v_max3_f32 v81, |v4|, |v5|, v81                            // 00000000A1FC: D1D30351 05460B04
	v_max3_f32 v81, |v6|, |v7|, v81                            // 00000000A204: D1D30351 05460F06
	v_max3_f32 v81, |v8|, |v9|, v81                            // 00000000A20C: D1D30351 05461308
	v_max3_f32 v81, |v10|, |v11|, v81                          // 00000000A214: D1D30351 0546170A
	v_max3_f32 v81, |v12|, |v13|, v81                          // 00000000A21C: D1D30351 05461B0C
	v_max3_f32 v81, |v14|, |v15|, v81                          // 00000000A224: D1D30351 05461F0E
	v_max3_f32 v81, |v16|, |v17|, v81                          // 00000000A22C: D1D30351 05462310
	v_max3_f32 v81, |v18|, |v19|, v81                          // 00000000A234: D1D30351 05462712
	v_rcp_f32_e32 v81, v81                                     // 00000000A23C: 7EA24551
	v_mov_b32_e32 v4, 0x43700000                               // 00000000A240: 7E0802FF 43700000
	v_mul_f32_e32 v81, v4, v81                                 // 00000000A248: 0AA2A304
	v_mov_b32_e32 v4, v81                                      // 00000000A24C: 7E080351
	v_mov_b32_e32 v5, v4                                       // 00000000A250: 7E0A0304
	v_pk_mul_f32 v[52:53], v[4:5], v[52:53]                    // 00000000A254: D3B14034 18026904
	v_pk_mul_f32 v[54:55], v[4:5], v[54:55]                    // 00000000A25C: D3B14036 18026D04
	v_cvt_pk_fp8_f32 v52, v52, v53                             // 00000000A264: D2A20034 00026B34
	v_cvt_pk_fp8_f32 v52, v54, v55 op_sel:[0,0,1]              // 00000000A26C: D2A24034 00026F36
	v_pk_mul_f32 v[60:61], v[4:5], v[60:61]                    // 00000000A274: D3B1403C 18027904
	v_pk_mul_f32 v[62:63], v[4:5], v[62:63]                    // 00000000A27C: D3B1403E 18027D04
	v_cvt_pk_fp8_f32 v60, v60, v61                             // 00000000A284: D2A2003C 00027B3C
	v_cvt_pk_fp8_f32 v60, v62, v63 op_sel:[0,0,1]              // 00000000A28C: D2A2403C 00027F3E
	v_rcp_f32_e32 v81, v81                                     // 00000000A294: 7EA24551
	v_mov_b32_e32 v83, 0x358637bd                              // 00000000A298: 7EA602FF 358637BD
	v_max3_f32 v83, |v68|, |v69|, v83                          // 00000000A2A0: D1D30353 054E8B44
	v_max3_f32 v83, |v70|, |v71|, v83                          // 00000000A2A8: D1D30353 054E8F46
	v_max3_f32 v83, |v76|, |v77|, v83                          // 00000000A2B0: D1D30353 054E9B4C
	v_max3_f32 v83, |v78|, |v79|, v83                          // 00000000A2B8: D1D30353 054E9F4E
	ds_write_b32 v84, v83                                      // 00000000A2C0: D81A0000 00005354
	s_waitcnt lgkmcnt(0)                                       // 00000000A2C8: BF8CC07F
	s_barrier                                                  // 00000000A2CC: BF8A0000
	ds_read_b32 v4, v85                                        // 00000000A2D0: D86C0000 04000055
	ds_read_b32 v5, v85 offset:64                              // 00000000A2D8: D86C0040 05000055
	ds_read_b32 v6, v85 offset:128                             // 00000000A2E0: D86C0080 06000055
	ds_read_b32 v7, v85 offset:192                             // 00000000A2E8: D86C00C0 07000055
	ds_read_b32 v8, v85 offset:256                             // 00000000A2F0: D86C0100 08000055
	ds_read_b32 v9, v85 offset:320                             // 00000000A2F8: D86C0140 09000055
	ds_read_b32 v10, v85 offset:384                            // 00000000A300: D86C0180 0A000055
	ds_read_b32 v11, v85 offset:448                            // 00000000A308: D86C01C0 0B000055
	ds_read_b32 v12, v85 offset:512                            // 00000000A310: D86C0200 0C000055
	ds_read_b32 v13, v85 offset:576                            // 00000000A318: D86C0240 0D000055
	ds_read_b32 v14, v85 offset:640                            // 00000000A320: D86C0280 0E000055
	ds_read_b32 v15, v85 offset:704                            // 00000000A328: D86C02C0 0F000055
	ds_read_b32 v16, v85 offset:768                            // 00000000A330: D86C0300 10000055
	ds_read_b32 v17, v85 offset:832                            // 00000000A338: D86C0340 11000055
	ds_read_b32 v18, v85 offset:896                            // 00000000A340: D86C0380 12000055
	ds_read_b32 v19, v85 offset:960                            // 00000000A348: D86C03C0 13000055
	s_waitcnt lgkmcnt(0)                                       // 00000000A350: BF8CC07F
	s_barrier                                                  // 00000000A354: BF8A0000
	v_max3_f32 v83, |v4|, |v5|, v83                            // 00000000A358: D1D30353 054E0B04
	v_max3_f32 v83, |v6|, |v7|, v83                            // 00000000A360: D1D30353 054E0F06
	v_max3_f32 v83, |v8|, |v9|, v83                            // 00000000A368: D1D30353 054E1308
	v_max3_f32 v83, |v10|, |v11|, v83                          // 00000000A370: D1D30353 054E170A
	v_max3_f32 v83, |v12|, |v13|, v83                          // 00000000A378: D1D30353 054E1B0C
	v_max3_f32 v83, |v14|, |v15|, v83                          // 00000000A380: D1D30353 054E1F0E
	v_max3_f32 v83, |v16|, |v17|, v83                          // 00000000A388: D1D30353 054E2310
	v_max3_f32 v83, |v18|, |v19|, v83                          // 00000000A390: D1D30353 054E2712
	v_rcp_f32_e32 v83, v83                                     // 00000000A398: 7EA64553
	v_mov_b32_e32 v4, 0x43700000                               // 00000000A39C: 7E0802FF 43700000
	v_mul_f32_e32 v83, v4, v83                                 // 00000000A3A4: 0AA6A704
	v_mov_b32_e32 v4, v83                                      // 00000000A3A8: 7E080353
	v_mov_b32_e32 v5, v4                                       // 00000000A3AC: 7E0A0304
	v_pk_mul_f32 v[68:69], v[4:5], v[68:69]                    // 00000000A3B0: D3B14044 18028904
	v_pk_mul_f32 v[70:71], v[4:5], v[70:71]                    // 00000000A3B8: D3B14046 18028D04
	v_cvt_pk_fp8_f32 v68, v68, v69                             // 00000000A3C0: D2A20044 00028B44
	v_cvt_pk_fp8_f32 v68, v70, v71 op_sel:[0,0,1]              // 00000000A3C8: D2A24044 00028F46
	v_pk_mul_f32 v[76:77], v[4:5], v[76:77]                    // 00000000A3D0: D3B1404C 18029904
	v_pk_mul_f32 v[78:79], v[4:5], v[78:79]                    // 00000000A3D8: D3B1404E 18029D04
	v_cvt_pk_fp8_f32 v76, v76, v77                             // 00000000A3E0: D2A2004C 00029B4C
	v_cvt_pk_fp8_f32 v76, v78, v79 op_sel:[0,0,1]              // 00000000A3E8: D2A2404C 00029F4E
	v_rcp_f32_e32 v83, v83                                     // 00000000A3F0: 7EA64553
	v_lshrrev_b32_e32 v4, 5, v0                                // 00000000A3F4: 20080085
	v_mul_lo_u32 v20, 34, v4                                   // 00000000A3F8: D2850014 000208A2
	v_and_b32_e32 v4, 31, v0                                   // 00000000A400: 2608009F
	v_lshrrev_b32_e32 v5, 4, v4                                // 00000000A404: 200A0884
	v_add_u32_e32 v20, v5, v20                                 // 00000000A408: 68282905
	v_and_b32_e32 v4, 15, v0                                   // 00000000A40C: 2608008F
	v_mul_lo_u32 v5, 2, v4                                     // 00000000A410: D2850005 00020882
	v_add_u32_e32 v20, v5, v20                                 // 00000000A418: 68282905
	s_mul_i32 s60, s7, 0x44                                    // 00000000A41C: 923CFF07 00000044
	v_add_u32_e32 v20, s60, v20                                // 00000000A424: 6828283C
	v_lshlrev_b32_e32 v20, 2, v20                              // 00000000A428: 24282882
	ds_write_b32 v20, v48                                      // 00000000A42C: D81A0000 00003014
	ds_write_b32 v20, v52 offset:4352                          // 00000000A434: D81A1100 00003414
	ds_write_b32 v20, v56 offset:1088                          // 00000000A43C: D81A0440 00003814
	ds_write_b32 v20, v60 offset:5440                          // 00000000A444: D81A1540 00003C14
	ds_write_b32 v20, v64 offset:2176                          // 00000000A44C: D81A0880 00004014
	ds_write_b32 v20, v68 offset:6528                          // 00000000A454: D81A1980 00004414
	ds_write_b32 v20, v72 offset:3264                          // 00000000A45C: D81A0CC0 00004814
	ds_write_b32 v20, v76 offset:7616                          // 00000000A464: D81A1DC0 00004C14
	v_lshrrev_b32_e32 v4, 5, v0                                // 00000000A46C: 20080085
	v_xor_b32_e32 v5, 1, v4                                    // 00000000A470: 2A0A0881
	s_mul_i32 s60, s65, 1                                      // 00000000A474: 923C8141
	s_cmp_eq_u32 s88, 0                                        // 00000000A478: BF068058
	s_cselect_b32 s61, 1, 8                                    // 00000000A47C: 853D8881
	s_mul_i32 s60, s61, s60                                    // 00000000A480: 923C3C3D
	v_readlane_b32 s82, v3, 0                                  // 00000000A484: D2890052 00010103
	s_lshr_b32 s61, s82, 24                                    // 00000000A48C: 8F3D9852
	s_and_b32 s82, s82, 0xffffff                               // 00000000A490: 8652FF52 00FFFFFF
	s_mul_i32 s82, s82, s71                                    // 00000000A498: 92524752
	s_mul_i32 s61, s60, s61                                    // 00000000A49C: 923D3D3C
	s_add_u32 s82, s82, s61                                    // 00000000A4A0: 80523D52
	v_mul_lo_u32 v6, v5, s82                                   // 00000000A4A4: D2850006 0000A505
	v_readlane_b32 s82, v3, 1                                  // 00000000A4AC: D2890052 00010303
	s_lshr_b32 s61, s82, 24                                    // 00000000A4B4: 8F3D9852
	s_and_b32 s82, s82, 0xffffff                               // 00000000A4B8: 8652FF52 00FFFFFF
	s_mul_i32 s82, s82, s71                                    // 00000000A4C0: 92524752
	s_mul_i32 s61, s60, s61                                    // 00000000A4C4: 923D3D3C
	s_add_u32 s82, s82, s61                                    // 00000000A4C8: 80523D52
	v_mul_lo_u32 v7, v4, s82                                   // 00000000A4CC: D2850007 0000A504
	v_add_u32_e32 v38, v6, v7                                  // 00000000A4D4: 684C0F06
	v_readlane_b32 s82, v3, 2                                  // 00000000A4D8: D2890052 00010503
	s_lshr_b32 s61, s82, 24                                    // 00000000A4E0: 8F3D9852
	s_and_b32 s82, s82, 0xffffff                               // 00000000A4E4: 8652FF52 00FFFFFF
	s_mul_i32 s82, s82, s71                                    // 00000000A4EC: 92524752
	s_mul_i32 s61, s60, s61                                    // 00000000A4F0: 923D3D3C
	s_add_u32 s82, s82, s61                                    // 00000000A4F4: 80523D52
	v_mul_lo_u32 v6, v5, s82                                   // 00000000A4F8: D2850006 0000A505
	v_readlane_b32 s82, v3, 3                                  // 00000000A500: D2890052 00010703
	s_lshr_b32 s61, s82, 24                                    // 00000000A508: 8F3D9852
	s_and_b32 s82, s82, 0xffffff                               // 00000000A50C: 8652FF52 00FFFFFF
	s_mul_i32 s82, s82, s71                                    // 00000000A514: 92524752
	s_mul_i32 s61, s60, s61                                    // 00000000A518: 923D3D3C
	s_add_u32 s82, s82, s61                                    // 00000000A51C: 80523D52
	v_mul_lo_u32 v7, v4, s82                                   // 00000000A520: D2850007 0000A504
	v_add_u32_e32 v39, v6, v7                                  // 00000000A528: 684E0F06
	v_readlane_b32 s82, v3, 4                                  // 00000000A52C: D2890052 00010903
	s_lshr_b32 s61, s82, 24                                    // 00000000A534: 8F3D9852
	s_and_b32 s82, s82, 0xffffff                               // 00000000A538: 8652FF52 00FFFFFF
	s_mul_i32 s82, s82, s71                                    // 00000000A540: 92524752
	s_mul_i32 s61, s60, s61                                    // 00000000A544: 923D3D3C
	s_add_u32 s82, s82, s61                                    // 00000000A548: 80523D52
	v_mul_lo_u32 v6, v5, s82                                   // 00000000A54C: D2850006 0000A505
	v_readlane_b32 s82, v3, 5                                  // 00000000A554: D2890052 00010B03
	s_lshr_b32 s61, s82, 24                                    // 00000000A55C: 8F3D9852
	s_and_b32 s82, s82, 0xffffff                               // 00000000A560: 8652FF52 00FFFFFF
	s_mul_i32 s82, s82, s71                                    // 00000000A568: 92524752
	s_mul_i32 s61, s60, s61                                    // 00000000A56C: 923D3D3C
	s_add_u32 s82, s82, s61                                    // 00000000A570: 80523D52
	v_mul_lo_u32 v7, v4, s82                                   // 00000000A574: D2850007 0000A504
	v_add_u32_e32 v40, v6, v7                                  // 00000000A57C: 68500F06
	v_readlane_b32 s82, v3, 6                                  // 00000000A580: D2890052 00010D03
	s_lshr_b32 s61, s82, 24                                    // 00000000A588: 8F3D9852
	s_and_b32 s82, s82, 0xffffff                               // 00000000A58C: 8652FF52 00FFFFFF
	s_mul_i32 s82, s82, s71                                    // 00000000A594: 92524752
	s_mul_i32 s61, s60, s61                                    // 00000000A598: 923D3D3C
	s_add_u32 s82, s82, s61                                    // 00000000A59C: 80523D52
	v_mul_lo_u32 v6, v5, s82                                   // 00000000A5A0: D2850006 0000A505
	v_readlane_b32 s82, v3, 7                                  // 00000000A5A8: D2890052 00010F03
	s_lshr_b32 s61, s82, 24                                    // 00000000A5B0: 8F3D9852
	s_and_b32 s82, s82, 0xffffff                               // 00000000A5B4: 8652FF52 00FFFFFF
	s_mul_i32 s82, s82, s71                                    // 00000000A5BC: 92524752
	s_mul_i32 s61, s60, s61                                    // 00000000A5C0: 923D3D3C
	s_add_u32 s82, s82, s61                                    // 00000000A5C4: 80523D52
	v_mul_lo_u32 v7, v4, s82                                   // 00000000A5C8: D2850007 0000A504
	v_add_u32_e32 v41, v6, v7                                  // 00000000A5D0: 68520F06
	v_and_b32_e32 v4, 31, v0                                   // 00000000A5D4: 2608009F
	v_lshrrev_b32_e32 v4, 1, v4                                // 00000000A5D8: 20080881
	s_cmp_eq_u32 s88, 0                                        // 00000000A5DC: BF068058
	s_cselect_b32 s61, 2, 4                                    // 00000000A5E0: 853D8482
	v_mul_lo_u32 v4, v4, s61                                   // 00000000A5E4: D2850004 00007B04
	v_and_b32_e64 v5, v0, 1                                    // 00000000A5EC: D1130005 00010300
	v_add_u32_e32 v4, v4, v5                                   // 00000000A5F4: 68080B04
	v_lshlrev_b32_e32 v4, 2, v4                                // 00000000A5F8: 24080882
	v_add_u32_e32 v38, v38, v4                                 // 00000000A5FC: 684C0926
	v_add_u32_e32 v39, v39, v4                                 // 00000000A600: 684E0927
	v_add_u32_e32 v40, v40, v4                                 // 00000000A604: 68500928
	v_add_u32_e32 v41, v41, v4                                 // 00000000A608: 68520929
	s_waitcnt lgkmcnt(0)                                       // 00000000A60C: BF8CC07F
	s_barrier                                                  // 00000000A610: BF8A0000
	ds_read_b32 v48, v21                                       // 00000000A614: D86C0000 30000015
	ds_read_b32 v49, v21 offset:64                             // 00000000A61C: D86C0040 31000015
	ds_read_b32 v50, v21 offset:2176                           // 00000000A624: D86C0880 32000015
	ds_read_b32 v51, v21 offset:2240                           // 00000000A62C: D86C08C0 33000015
	ds_read_b32 v52, v21 offset:4352                           // 00000000A634: D86C1100 34000015
	ds_read_b32 v53, v21 offset:4416                           // 00000000A63C: D86C1140 35000015
	ds_read_b32 v54, v21 offset:6528                           // 00000000A644: D86C1980 36000015
	ds_read_b32 v55, v21 offset:6592                           // 00000000A64C: D86C19C0 37000015
	s_waitcnt lgkmcnt(0)                                       // 00000000A654: BF8CC07F
	s_mov_b32 s36, -1                                          // 00000000A658: BEA400C1
	s_mov_b32 s37, -1                                          // 00000000A65C: BEA500C1
	v_mov_b32_e32 v7, 0                                        // 00000000A660: 7E0E0280
	s_or_b32 s9, s9, 0x40000                                   // 00000000A664: 8709FF09 00040000
	s_mov_b64 exec, s[36:37]                                   // 00000000A66C: BEFE0124
	v_mov_b32_e32 v6, v38                                      // 00000000A670: 7E0C0326
	s_mov_b64 s[60:61], 0                                      // 00000000A674: BEBC0180
	v_readlane_b32 s82, v3, 0                                  // 00000000A678: D2890052 00010103
	s_and_b32 s82, s82, 0xffffff                               // 00000000A680: 8652FF52 00FFFFFF
	s_cmp_lt_u32 s82, s66                                      // 00000000A688: BF0A4252
	s_cselect_b32 s20, s36, s60                                // 00000000A68C: 85143C24
	v_readlane_b32 s82, v3, 1                                  // 00000000A690: D2890052 00010303
	s_and_b32 s82, s82, 0xffffff                               // 00000000A698: 8652FF52 00FFFFFF
	s_cmp_lt_u32 s82, s66                                      // 00000000A6A0: BF0A4252
	s_cselect_b32 s21, s36, s60                                // 00000000A6A4: 85153C24
	s_mov_b64 exec, s[20:21]                                   // 00000000A6A8: BEFE0114
	buffer_store_dword v48, v6, s[8:11], 0 offen               // 00000000A6AC: E0701000 80023006
	buffer_store_dword v50, v6, s[8:11], 0 offen offset:128    // 00000000A6B4: E0701080 80023206
	s_mov_b64 exec, s[36:37]                                   // 00000000A6BC: BEFE0124
	v_mov_b32_e32 v6, v39                                      // 00000000A6C0: 7E0C0327
	s_mov_b64 s[60:61], 0                                      // 00000000A6C4: BEBC0180
	v_readlane_b32 s82, v3, 2                                  // 00000000A6C8: D2890052 00010503
	s_and_b32 s82, s82, 0xffffff                               // 00000000A6D0: 8652FF52 00FFFFFF
	s_cmp_lt_u32 s82, s66                                      // 00000000A6D8: BF0A4252
	s_cselect_b32 s20, s36, s60                                // 00000000A6DC: 85143C24
	v_readlane_b32 s82, v3, 3                                  // 00000000A6E0: D2890052 00010703
	s_and_b32 s82, s82, 0xffffff                               // 00000000A6E8: 8652FF52 00FFFFFF
	s_cmp_lt_u32 s82, s66                                      // 00000000A6F0: BF0A4252
	s_cselect_b32 s21, s36, s60                                // 00000000A6F4: 85153C24
	s_mov_b64 exec, s[20:21]                                   // 00000000A6F8: BEFE0114
	buffer_store_dword v49, v6, s[8:11], 0 offen               // 00000000A6FC: E0701000 80023106
	buffer_store_dword v51, v6, s[8:11], 0 offen offset:128    // 00000000A704: E0701080 80023306
	s_mov_b64 exec, s[36:37]                                   // 00000000A70C: BEFE0124
	v_mov_b32_e32 v6, v40                                      // 00000000A710: 7E0C0328
	s_mov_b64 s[60:61], 0                                      // 00000000A714: BEBC0180
	v_readlane_b32 s82, v3, 4                                  // 00000000A718: D2890052 00010903
	s_and_b32 s82, s82, 0xffffff                               // 00000000A720: 8652FF52 00FFFFFF
	s_cmp_lt_u32 s82, s66                                      // 00000000A728: BF0A4252
	s_cselect_b32 s20, s36, s60                                // 00000000A72C: 85143C24
	v_readlane_b32 s82, v3, 5                                  // 00000000A730: D2890052 00010B03
	s_and_b32 s82, s82, 0xffffff                               // 00000000A738: 8652FF52 00FFFFFF
	s_cmp_lt_u32 s82, s66                                      // 00000000A740: BF0A4252
	s_cselect_b32 s21, s36, s60                                // 00000000A744: 85153C24
	s_mov_b64 exec, s[20:21]                                   // 00000000A748: BEFE0114
	buffer_store_dword v52, v6, s[8:11], 0 offen               // 00000000A74C: E0701000 80023406
	buffer_store_dword v54, v6, s[8:11], 0 offen offset:128    // 00000000A754: E0701080 80023606
	s_mov_b64 exec, s[36:37]                                   // 00000000A75C: BEFE0124
	v_mov_b32_e32 v6, v41                                      // 00000000A760: 7E0C0329
	s_mov_b64 s[60:61], 0                                      // 00000000A764: BEBC0180
	v_readlane_b32 s82, v3, 6                                  // 00000000A768: D2890052 00010D03
	s_and_b32 s82, s82, 0xffffff                               // 00000000A770: 8652FF52 00FFFFFF
	s_cmp_lt_u32 s82, s66                                      // 00000000A778: BF0A4252
	s_cselect_b32 s20, s36, s60                                // 00000000A77C: 85143C24
	v_readlane_b32 s82, v3, 7                                  // 00000000A780: D2890052 00010F03
	s_and_b32 s82, s82, 0xffffff                               // 00000000A788: 8652FF52 00FFFFFF
	s_cmp_lt_u32 s82, s66                                      // 00000000A790: BF0A4252
	s_cselect_b32 s21, s36, s60                                // 00000000A794: 85153C24
	s_mov_b64 exec, s[20:21]                                   // 00000000A798: BEFE0114
	buffer_store_dword v53, v6, s[8:11], 0 offen               // 00000000A79C: E0701000 80023506
	buffer_store_dword v55, v6, s[8:11], 0 offen offset:128    // 00000000A7A4: E0701080 80023706
	s_mov_b64 exec, s[36:37]                                   // 00000000A7AC: BEFE0124
	s_cmp_eq_u32 s7, 0                                         // 00000000A7B0: BF068007
	s_cbranch_scc0 label_225C                                  // 00000000A7B4: BF8402EB
	s_waitcnt vmcnt(8)                                         // 00000000A7B8: BF8C0F78
	s_mov_b32 s8, s90                                          // 00000000A7BC: BE88005A
	s_mov_b32 s9, s91                                          // 00000000A7C0: BE89005B
	s_mul_i32 s60, s66, s71                                    // 00000000A7C4: 923C4742
	s_add_u32 s8, s60, s8                                      // 00000000A7C8: 8008083C
	s_addc_u32 s9, 0, s9                                       // 00000000A7CC: 82090980
	s_lshr_b32 s71, s71, 5                                     // 00000000A7D0: 8F478547
	s_mul_i32 s60, s66, s71                                    // 00000000A7D4: 923C4742
	s_mov_b32 s10, s60                                         // 00000000A7D8: BE8A003C
	s_lshr_b32 s61, s65, 5                                     // 00000000A7DC: 8F3D8541
	s_mul_i32 s60, s2, 8                                       // 00000000A7E0: 923C8802
	v_lshrrev_b32_e32 v4, 24, v30                              // 00000000A7E4: 20083C98
	v_mul_lo_u32 v4, s61, v4                                   // 00000000A7E8: D2850004 0002083D
	v_and_b32_e32 v30, 0xffffff, v30                           // 00000000A7F0: 263C3CFF 00FFFFFF
	v_mul_lo_u32 v30, s71, v30                                 // 00000000A7F8: D285001E 00023C47
	v_add_u32_e32 v30, v4, v30                                 // 00000000A800: 683C3D04
	v_add_u32_e32 v30, s60, v30                                // 00000000A804: 683C3C3C
	v_lshrrev_b32_e32 v4, 24, v31                              // 00000000A808: 20083E98
	v_mul_lo_u32 v4, s61, v4                                   // 00000000A80C: D2850004 0002083D
	v_and_b32_e32 v31, 0xffffff, v31                           // 00000000A814: 263E3EFF 00FFFFFF
	v_mul_lo_u32 v31, s71, v31                                 // 00000000A81C: D285001F 00023E47
	v_add_u32_e32 v31, v4, v31                                 // 00000000A824: 683E3F04
	v_add_u32_e32 v31, s60, v31                                // 00000000A828: 683E3E3C
	s_mov_b64 exec, 0xffff                                     // 00000000A82C: BEFE01FF 0000FFFF
	buffer_store_dword v80, v30, s[8:11], 0 offen              // 00000000A834: E0701000 8002501E
	buffer_store_dword v82, v30, s[8:11], 0 offen offset:4     // 00000000A83C: E0701004 8002521E
	buffer_store_dword v81, v31, s[8:11], 0 offen              // 00000000A844: E0701000 8002511F
	buffer_store_dword v83, v31, s[8:11], 0 offen offset:4     // 00000000A84C: E0701004 8002531F
	s_mov_b64 exec, s[36:37]                                   // 00000000A854: BEFE0124
	s_branch label_225C                                        // 00000000A858: BF8202C2

000000000000a85c <label_1F9A>:
	ds_write_b64 v20, v[48:49]                                 // 00000000A85C: D89A0000 00003014
	ds_write_b64 v20, v[52:53] offset:8704                     // 00000000A864: D89A2200 00003414
	ds_write_b64 v20, v[56:57] offset:2176                     // 00000000A86C: D89A0880 00003814
	ds_write_b64 v20, v[60:61] offset:10880                    // 00000000A874: D89A2A80 00003C14
	ds_write_b64 v20, v[64:65] offset:4352                     // 00000000A87C: D89A1100 00004014
	ds_write_b64 v20, v[68:69] offset:13056                    // 00000000A884: D89A3300 00004414
	ds_write_b64 v20, v[72:73] offset:6528                     // 00000000A88C: D89A1980 00004814
	ds_write_b64 v20, v[76:77] offset:15232                    // 00000000A894: D89A3B80 00004C14
	v_lshrrev_b32_e32 v4, 5, v0                                // 00000000A89C: 20080085
	v_xor_b32_e32 v5, 1, v4                                    // 00000000A8A0: 2A0A0881
	s_mul_i32 s60, s65, 1                                      // 00000000A8A4: 923C8141
	s_cmp_eq_u32 s88, 0                                        // 00000000A8A8: BF068058
	s_cselect_b32 s61, 1, 8                                    // 00000000A8AC: 853D8881
	s_mul_i32 s60, s61, s60                                    // 00000000A8B0: 923C3C3D
	v_readlane_b32 s82, v3, 0                                  // 00000000A8B4: D2890052 00010103
	s_lshr_b32 s61, s82, 24                                    // 00000000A8BC: 8F3D9852
	s_and_b32 s82, s82, 0xffffff                               // 00000000A8C0: 8652FF52 00FFFFFF
	s_mul_i32 s82, s82, s71                                    // 00000000A8C8: 92524752
	s_mul_i32 s61, s60, s61                                    // 00000000A8CC: 923D3D3C
	s_add_u32 s82, s82, s61                                    // 00000000A8D0: 80523D52
	v_mul_lo_u32 v6, v5, s82                                   // 00000000A8D4: D2850006 0000A505
	v_readlane_b32 s82, v3, 1                                  // 00000000A8DC: D2890052 00010303
	s_lshr_b32 s61, s82, 24                                    // 00000000A8E4: 8F3D9852
	s_and_b32 s82, s82, 0xffffff                               // 00000000A8E8: 8652FF52 00FFFFFF
	s_mul_i32 s82, s82, s71                                    // 00000000A8F0: 92524752
	s_mul_i32 s61, s60, s61                                    // 00000000A8F4: 923D3D3C
	s_add_u32 s82, s82, s61                                    // 00000000A8F8: 80523D52
	v_mul_lo_u32 v7, v4, s82                                   // 00000000A8FC: D2850007 0000A504
	v_add_u32_e32 v38, v6, v7                                  // 00000000A904: 684C0F06
	v_readlane_b32 s82, v3, 2                                  // 00000000A908: D2890052 00010503
	s_lshr_b32 s61, s82, 24                                    // 00000000A910: 8F3D9852
	s_and_b32 s82, s82, 0xffffff                               // 00000000A914: 8652FF52 00FFFFFF
	s_mul_i32 s82, s82, s71                                    // 00000000A91C: 92524752
	s_mul_i32 s61, s60, s61                                    // 00000000A920: 923D3D3C
	s_add_u32 s82, s82, s61                                    // 00000000A924: 80523D52
	v_mul_lo_u32 v6, v5, s82                                   // 00000000A928: D2850006 0000A505
	v_readlane_b32 s82, v3, 3                                  // 00000000A930: D2890052 00010703
	s_lshr_b32 s61, s82, 24                                    // 00000000A938: 8F3D9852
	s_and_b32 s82, s82, 0xffffff                               // 00000000A93C: 8652FF52 00FFFFFF
	s_mul_i32 s82, s82, s71                                    // 00000000A944: 92524752
	s_mul_i32 s61, s60, s61                                    // 00000000A948: 923D3D3C
	s_add_u32 s82, s82, s61                                    // 00000000A94C: 80523D52
	v_mul_lo_u32 v7, v4, s82                                   // 00000000A950: D2850007 0000A504
	v_add_u32_e32 v39, v6, v7                                  // 00000000A958: 684E0F06
	v_readlane_b32 s82, v3, 4                                  // 00000000A95C: D2890052 00010903
	s_lshr_b32 s61, s82, 24                                    // 00000000A964: 8F3D9852
	s_and_b32 s82, s82, 0xffffff                               // 00000000A968: 8652FF52 00FFFFFF
	s_mul_i32 s82, s82, s71                                    // 00000000A970: 92524752
	s_mul_i32 s61, s60, s61                                    // 00000000A974: 923D3D3C
	s_add_u32 s82, s82, s61                                    // 00000000A978: 80523D52
	v_mul_lo_u32 v6, v5, s82                                   // 00000000A97C: D2850006 0000A505
	v_readlane_b32 s82, v3, 5                                  // 00000000A984: D2890052 00010B03
	s_lshr_b32 s61, s82, 24                                    // 00000000A98C: 8F3D9852
	s_and_b32 s82, s82, 0xffffff                               // 00000000A990: 8652FF52 00FFFFFF
	s_mul_i32 s82, s82, s71                                    // 00000000A998: 92524752
	s_mul_i32 s61, s60, s61                                    // 00000000A99C: 923D3D3C
	s_add_u32 s82, s82, s61                                    // 00000000A9A0: 80523D52
	v_mul_lo_u32 v7, v4, s82                                   // 00000000A9A4: D2850007 0000A504
	v_add_u32_e32 v40, v6, v7                                  // 00000000A9AC: 68500F06
	v_readlane_b32 s82, v3, 6                                  // 00000000A9B0: D2890052 00010D03
	s_lshr_b32 s61, s82, 24                                    // 00000000A9B8: 8F3D9852
	s_and_b32 s82, s82, 0xffffff                               // 00000000A9BC: 8652FF52 00FFFFFF
	s_mul_i32 s82, s82, s71                                    // 00000000A9C4: 92524752
	s_mul_i32 s61, s60, s61                                    // 00000000A9C8: 923D3D3C
	s_add_u32 s82, s82, s61                                    // 00000000A9CC: 80523D52
	v_mul_lo_u32 v6, v5, s82                                   // 00000000A9D0: D2850006 0000A505
	v_readlane_b32 s82, v3, 7                                  // 00000000A9D8: D2890052 00010F03
	s_lshr_b32 s61, s82, 24                                    // 00000000A9E0: 8F3D9852
	s_and_b32 s82, s82, 0xffffff                               // 00000000A9E4: 8652FF52 00FFFFFF
	s_mul_i32 s82, s82, s71                                    // 00000000A9EC: 92524752
	s_mul_i32 s61, s60, s61                                    // 00000000A9F0: 923D3D3C
	s_add_u32 s82, s82, s61                                    // 00000000A9F4: 80523D52
	v_mul_lo_u32 v7, v4, s82                                   // 00000000A9F8: D2850007 0000A504
	v_add_u32_e32 v41, v6, v7                                  // 00000000AA00: 68520F06
	v_and_b32_e32 v4, 31, v0                                   // 00000000AA04: 2608009F
	v_lshrrev_b32_e32 v4, 1, v4                                // 00000000AA08: 20080881
	s_cmp_eq_u32 s88, 0                                        // 00000000AA0C: BF068058
	s_cselect_b32 s61, 2, 4                                    // 00000000AA10: 853D8482
	v_mul_lo_u32 v4, v4, s61                                   // 00000000AA14: D2850004 00007B04
	v_and_b32_e64 v5, v0, 1                                    // 00000000AA1C: D1130005 00010300
	v_add_u32_e32 v4, v4, v5                                   // 00000000AA24: 68080B04
	v_lshlrev_b32_e32 v4, 2, v4                                // 00000000AA28: 24080882
	v_add_u32_e32 v38, v38, v4                                 // 00000000AA2C: 684C0926
	v_add_u32_e32 v39, v39, v4                                 // 00000000AA30: 684E0927
	v_add_u32_e32 v40, v40, v4                                 // 00000000AA34: 68500928
	v_add_u32_e32 v41, v41, v4                                 // 00000000AA38: 68520929
	s_waitcnt lgkmcnt(0)                                       // 00000000AA3C: BF8CC07F
	s_barrier                                                  // 00000000AA40: BF8A0000
	ds_read_b32 v48, v21                                       // 00000000AA44: D86C0000 30000015
	ds_read_b32 v49, v21 offset:64                             // 00000000AA4C: D86C0040 31000015
	ds_read_b32 v52, v21 offset:2176                           // 00000000AA54: D86C0880 34000015
	ds_read_b32 v53, v21 offset:2240                           // 00000000AA5C: D86C08C0 35000015
	ds_read_b32 v56, v21 offset:4352                           // 00000000AA64: D86C1100 38000015
	ds_read_b32 v57, v21 offset:4416                           // 00000000AA6C: D86C1140 39000015
	ds_read_b32 v60, v21 offset:6528                           // 00000000AA74: D86C1980 3C000015
	ds_read_b32 v61, v21 offset:6592                           // 00000000AA7C: D86C19C0 3D000015
	ds_read_b32 v64, v21 offset:8704                           // 00000000AA84: D86C2200 40000015
	ds_read_b32 v65, v21 offset:8768                           // 00000000AA8C: D86C2240 41000015
	ds_read_b32 v68, v21 offset:10880                          // 00000000AA94: D86C2A80 44000015
	ds_read_b32 v69, v21 offset:10944                          // 00000000AA9C: D86C2AC0 45000015
	ds_read_b32 v72, v21 offset:13056                          // 00000000AAA4: D86C3300 48000015
	ds_read_b32 v73, v21 offset:13120                          // 00000000AAAC: D86C3340 49000015
	ds_read_b32 v76, v21 offset:15232                          // 00000000AAB4: D86C3B80 4C000015
	ds_read_b32 v77, v21 offset:15296                          // 00000000AABC: D86C3BC0 4D000015
	s_waitcnt lgkmcnt(0)                                       // 00000000AAC4: BF8CC07F
	s_mov_b32 s36, -1                                          // 00000000AAC8: BEA400C1
	s_mov_b32 s37, -1                                          // 00000000AACC: BEA500C1
	v_mov_b32_e32 v7, 0                                        // 00000000AAD0: 7E0E0280
	s_mov_b64 exec, s[36:37]                                   // 00000000AAD4: BEFE0124
	v_mov_b32_e32 v6, v38                                      // 00000000AAD8: 7E0C0326
	s_mov_b64 s[60:61], 0                                      // 00000000AADC: BEBC0180
	v_readlane_b32 s82, v3, 0                                  // 00000000AAE0: D2890052 00010103
	s_and_b32 s82, s82, 0xffffff                               // 00000000AAE8: 8652FF52 00FFFFFF
	s_cmp_lt_u32 s82, s66                                      // 00000000AAF0: BF0A4252
	s_cselect_b32 s20, s36, s60                                // 00000000AAF4: 85143C24
	v_readlane_b32 s82, v3, 1                                  // 00000000AAF8: D2890052 00010303
	s_and_b32 s82, s82, 0xffffff                               // 00000000AB00: 8652FF52 00FFFFFF
	s_cmp_lt_u32 s82, s66                                      // 00000000AB08: BF0A4252
	s_cselect_b32 s21, s36, s60                                // 00000000AB0C: 85153C24
	s_mov_b64 exec, s[20:21]                                   // 00000000AB10: BEFE0114
	global_atomic_add_f32 v6, v48, s[8:9]                      // 00000000AB14: DD348000 00083006
	global_atomic_add_f32 v6, v52, s[8:9] offset:256           // 00000000AB1C: DD348100 00083406
	global_atomic_add_f32 v6, v56, s[8:9] offset:512           // 00000000AB24: DD348200 00083806
	global_atomic_add_f32 v6, v60, s[8:9] offset:768           // 00000000AB2C: DD348300 00083C06
	s_mov_b64 exec, s[36:37]                                   // 00000000AB34: BEFE0124
	v_mov_b32_e32 v6, v39                                      // 00000000AB38: 7E0C0327
	s_mov_b64 s[60:61], 0                                      // 00000000AB3C: BEBC0180
	v_readlane_b32 s82, v3, 2                                  // 00000000AB40: D2890052 00010503
	s_and_b32 s82, s82, 0xffffff                               // 00000000AB48: 8652FF52 00FFFFFF
	s_cmp_lt_u32 s82, s66                                      // 00000000AB50: BF0A4252
	s_cselect_b32 s20, s36, s60                                // 00000000AB54: 85143C24
	v_readlane_b32 s82, v3, 3                                  // 00000000AB58: D2890052 00010703
	s_and_b32 s82, s82, 0xffffff                               // 00000000AB60: 8652FF52 00FFFFFF
	s_cmp_lt_u32 s82, s66                                      // 00000000AB68: BF0A4252
	s_cselect_b32 s21, s36, s60                                // 00000000AB6C: 85153C24
	s_mov_b64 exec, s[20:21]                                   // 00000000AB70: BEFE0114
	global_atomic_add_f32 v6, v49, s[8:9]                      // 00000000AB74: DD348000 00083106
	global_atomic_add_f32 v6, v53, s[8:9] offset:256           // 00000000AB7C: DD348100 00083506
	global_atomic_add_f32 v6, v57, s[8:9] offset:512           // 00000000AB84: DD348200 00083906
	global_atomic_add_f32 v6, v61, s[8:9] offset:768           // 00000000AB8C: DD348300 00083D06
	s_mov_b64 exec, s[36:37]                                   // 00000000AB94: BEFE0124
	v_mov_b32_e32 v6, v40                                      // 00000000AB98: 7E0C0328
	s_mov_b64 s[60:61], 0                                      // 00000000AB9C: BEBC0180
	v_readlane_b32 s82, v3, 4                                  // 00000000ABA0: D2890052 00010903
	s_and_b32 s82, s82, 0xffffff                               // 00000000ABA8: 8652FF52 00FFFFFF
	s_cmp_lt_u32 s82, s66                                      // 00000000ABB0: BF0A4252
	s_cselect_b32 s20, s36, s60                                // 00000000ABB4: 85143C24
	v_readlane_b32 s82, v3, 5                                  // 00000000ABB8: D2890052 00010B03
	s_and_b32 s82, s82, 0xffffff                               // 00000000ABC0: 8652FF52 00FFFFFF
	s_cmp_lt_u32 s82, s66                                      // 00000000ABC8: BF0A4252
	s_cselect_b32 s21, s36, s60                                // 00000000ABCC: 85153C24
	s_mov_b64 exec, s[20:21]                                   // 00000000ABD0: BEFE0114
	global_atomic_add_f32 v6, v64, s[8:9]                      // 00000000ABD4: DD348000 00084006
	global_atomic_add_f32 v6, v68, s[8:9] offset:256           // 00000000ABDC: DD348100 00084406
	global_atomic_add_f32 v6, v72, s[8:9] offset:512           // 00000000ABE4: DD348200 00084806
	global_atomic_add_f32 v6, v76, s[8:9] offset:768           // 00000000ABEC: DD348300 00084C06
	s_mov_b64 exec, s[36:37]                                   // 00000000ABF4: BEFE0124
	v_mov_b32_e32 v6, v41                                      // 00000000ABF8: 7E0C0329
	s_mov_b64 s[60:61], 0                                      // 00000000ABFC: BEBC0180
	v_readlane_b32 s82, v3, 6                                  // 00000000AC00: D2890052 00010D03
	s_and_b32 s82, s82, 0xffffff                               // 00000000AC08: 8652FF52 00FFFFFF
	s_cmp_lt_u32 s82, s66                                      // 00000000AC10: BF0A4252
	s_cselect_b32 s20, s36, s60                                // 00000000AC14: 85143C24
	v_readlane_b32 s82, v3, 7                                  // 00000000AC18: D2890052 00010F03
	s_and_b32 s82, s82, 0xffffff                               // 00000000AC20: 8652FF52 00FFFFFF
	s_cmp_lt_u32 s82, s66                                      // 00000000AC28: BF0A4252
	s_cselect_b32 s21, s36, s60                                // 00000000AC2C: 85153C24
	s_mov_b64 exec, s[20:21]                                   // 00000000AC30: BEFE0114
	global_atomic_add_f32 v6, v65, s[8:9]                      // 00000000AC34: DD348000 00084106
	global_atomic_add_f32 v6, v69, s[8:9] offset:256           // 00000000AC3C: DD348100 00084506
	global_atomic_add_f32 v6, v73, s[8:9] offset:512           // 00000000AC44: DD348200 00084906
	global_atomic_add_f32 v6, v77, s[8:9] offset:768           // 00000000AC4C: DD348300 00084D06
	s_mov_b64 exec, s[36:37]                                   // 00000000AC54: BEFE0124
	ds_write_b64 v20, v[50:51]                                 // 00000000AC58: D89A0000 00003214
	ds_write_b64 v20, v[54:55] offset:8704                     // 00000000AC60: D89A2200 00003614
	ds_write_b64 v20, v[58:59] offset:2176                     // 00000000AC68: D89A0880 00003A14
	ds_write_b64 v20, v[62:63] offset:10880                    // 00000000AC70: D89A2A80 00003E14
	ds_write_b64 v20, v[66:67] offset:4352                     // 00000000AC78: D89A1100 00004214
	ds_write_b64 v20, v[70:71] offset:13056                    // 00000000AC80: D89A3300 00004614
	ds_write_b64 v20, v[74:75] offset:6528                     // 00000000AC88: D89A1980 00004A14
	ds_write_b64 v20, v[78:79] offset:15232                    // 00000000AC90: D89A3B80 00004E14
	s_waitcnt lgkmcnt(0)                                       // 00000000AC98: BF8CC07F
	s_barrier                                                  // 00000000AC9C: BF8A0000
	ds_read_b32 v50, v21                                       // 00000000ACA0: D86C0000 32000015
	ds_read_b32 v51, v21 offset:64                             // 00000000ACA8: D86C0040 33000015
	ds_read_b32 v54, v21 offset:2176                           // 00000000ACB0: D86C0880 36000015
	ds_read_b32 v55, v21 offset:2240                           // 00000000ACB8: D86C08C0 37000015
	ds_read_b32 v58, v21 offset:4352                           // 00000000ACC0: D86C1100 3A000015
	ds_read_b32 v59, v21 offset:4416                           // 00000000ACC8: D86C1140 3B000015
	ds_read_b32 v62, v21 offset:6528                           // 00000000ACD0: D86C1980 3E000015
	ds_read_b32 v63, v21 offset:6592                           // 00000000ACD8: D86C19C0 3F000015
	ds_read_b32 v66, v21 offset:8704                           // 00000000ACE0: D86C2200 42000015
	ds_read_b32 v67, v21 offset:8768                           // 00000000ACE8: D86C2240 43000015
	ds_read_b32 v70, v21 offset:10880                          // 00000000ACF0: D86C2A80 46000015
	ds_read_b32 v71, v21 offset:10944                          // 00000000ACF8: D86C2AC0 47000015
	ds_read_b32 v74, v21 offset:13056                          // 00000000AD00: D86C3300 4A000015
	ds_read_b32 v75, v21 offset:13120                          // 00000000AD08: D86C3340 4B000015
	ds_read_b32 v78, v21 offset:15232                          // 00000000AD10: D86C3B80 4E000015
	ds_read_b32 v79, v21 offset:15296                          // 00000000AD18: D86C3BC0 4F000015
	s_waitcnt lgkmcnt(0)                                       // 00000000AD20: BF8CC07F
	v_mov_b32_e32 v7, 0                                        // 00000000AD24: 7E0E0280
	s_mov_b64 exec, s[36:37]                                   // 00000000AD28: BEFE0124
	v_mov_b32_e32 v6, v38                                      // 00000000AD2C: 7E0C0326
	s_mov_b64 s[60:61], 0                                      // 00000000AD30: BEBC0180
	v_readlane_b32 s82, v3, 0                                  // 00000000AD34: D2890052 00010103
	s_and_b32 s82, s82, 0xffffff                               // 00000000AD3C: 8652FF52 00FFFFFF
	s_cmp_lt_u32 s82, s66                                      // 00000000AD44: BF0A4252
	s_cselect_b32 s20, s36, s60                                // 00000000AD48: 85143C24
	v_readlane_b32 s82, v3, 1                                  // 00000000AD4C: D2890052 00010303
	s_and_b32 s82, s82, 0xffffff                               // 00000000AD54: 8652FF52 00FFFFFF
	s_cmp_lt_u32 s82, s66                                      // 00000000AD5C: BF0A4252
	s_cselect_b32 s21, s36, s60                                // 00000000AD60: 85153C24
	s_mov_b64 exec, s[20:21]                                   // 00000000AD64: BEFE0114
	global_atomic_add_f32 v6, v50, s[8:9] offset:8             // 00000000AD68: DD348008 00083206
	global_atomic_add_f32 v6, v54, s[8:9] offset:264           // 00000000AD70: DD348108 00083606
	global_atomic_add_f32 v6, v58, s[8:9] offset:520           // 00000000AD78: DD348208 00083A06
	global_atomic_add_f32 v6, v62, s[8:9] offset:776           // 00000000AD80: DD348308 00083E06
	s_mov_b64 exec, s[36:37]                                   // 00000000AD88: BEFE0124
	v_mov_b32_e32 v6, v39                                      // 00000000AD8C: 7E0C0327
	s_mov_b64 s[60:61], 0                                      // 00000000AD90: BEBC0180
	v_readlane_b32 s82, v3, 2                                  // 00000000AD94: D2890052 00010503
	s_and_b32 s82, s82, 0xffffff                               // 00000000AD9C: 8652FF52 00FFFFFF
	s_cmp_lt_u32 s82, s66                                      // 00000000ADA4: BF0A4252
	s_cselect_b32 s20, s36, s60                                // 00000000ADA8: 85143C24
	v_readlane_b32 s82, v3, 3                                  // 00000000ADAC: D2890052 00010703
	s_and_b32 s82, s82, 0xffffff                               // 00000000ADB4: 8652FF52 00FFFFFF
	s_cmp_lt_u32 s82, s66                                      // 00000000ADBC: BF0A4252
	s_cselect_b32 s21, s36, s60                                // 00000000ADC0: 85153C24
	s_mov_b64 exec, s[20:21]                                   // 00000000ADC4: BEFE0114
	global_atomic_add_f32 v6, v51, s[8:9] offset:8             // 00000000ADC8: DD348008 00083306
	global_atomic_add_f32 v6, v55, s[8:9] offset:264           // 00000000ADD0: DD348108 00083706
	global_atomic_add_f32 v6, v59, s[8:9] offset:520           // 00000000ADD8: DD348208 00083B06
	global_atomic_add_f32 v6, v63, s[8:9] offset:776           // 00000000ADE0: DD348308 00083F06
	s_mov_b64 exec, s[36:37]                                   // 00000000ADE8: BEFE0124
	v_mov_b32_e32 v6, v40                                      // 00000000ADEC: 7E0C0328
	s_mov_b64 s[60:61], 0                                      // 00000000ADF0: BEBC0180
	v_readlane_b32 s82, v3, 4                                  // 00000000ADF4: D2890052 00010903
	s_and_b32 s82, s82, 0xffffff                               // 00000000ADFC: 8652FF52 00FFFFFF
	s_cmp_lt_u32 s82, s66                                      // 00000000AE04: BF0A4252
	s_cselect_b32 s20, s36, s60                                // 00000000AE08: 85143C24
	v_readlane_b32 s82, v3, 5                                  // 00000000AE0C: D2890052 00010B03
	s_and_b32 s82, s82, 0xffffff                               // 00000000AE14: 8652FF52 00FFFFFF
	s_cmp_lt_u32 s82, s66                                      // 00000000AE1C: BF0A4252
	s_cselect_b32 s21, s36, s60                                // 00000000AE20: 85153C24
	s_mov_b64 exec, s[20:21]                                   // 00000000AE24: BEFE0114
	global_atomic_add_f32 v6, v66, s[8:9] offset:8             // 00000000AE28: DD348008 00084206
	global_atomic_add_f32 v6, v70, s[8:9] offset:264           // 00000000AE30: DD348108 00084606
	global_atomic_add_f32 v6, v74, s[8:9] offset:520           // 00000000AE38: DD348208 00084A06
	global_atomic_add_f32 v6, v78, s[8:9] offset:776           // 00000000AE40: DD348308 00084E06
	s_mov_b64 exec, s[36:37]                                   // 00000000AE48: BEFE0124
	v_mov_b32_e32 v6, v41                                      // 00000000AE4C: 7E0C0329
	s_mov_b64 s[60:61], 0                                      // 00000000AE50: BEBC0180
	v_readlane_b32 s82, v3, 6                                  // 00000000AE54: D2890052 00010D03
	s_and_b32 s82, s82, 0xffffff                               // 00000000AE5C: 8652FF52 00FFFFFF
	s_cmp_lt_u32 s82, s66                                      // 00000000AE64: BF0A4252
	s_cselect_b32 s20, s36, s60                                // 00000000AE68: 85143C24
	v_readlane_b32 s82, v3, 7                                  // 00000000AE6C: D2890052 00010F03
	s_and_b32 s82, s82, 0xffffff                               // 00000000AE74: 8652FF52 00FFFFFF
	s_cmp_lt_u32 s82, s66                                      // 00000000AE7C: BF0A4252
	s_cselect_b32 s21, s36, s60                                // 00000000AE80: 85153C24
	s_mov_b64 exec, s[20:21]                                   // 00000000AE84: BEFE0114
	global_atomic_add_f32 v6, v67, s[8:9] offset:8             // 00000000AE88: DD348008 00084306
	global_atomic_add_f32 v6, v71, s[8:9] offset:264           // 00000000AE90: DD348108 00084706
	global_atomic_add_f32 v6, v75, s[8:9] offset:520           // 00000000AE98: DD348208 00084B06
	global_atomic_add_f32 v6, v79, s[8:9] offset:776           // 00000000AEA0: DD348308 00084F06
	s_mov_b64 exec, s[36:37]                                   // 00000000AEA8: BEFE0124
	ds_write_b64 v20, v[80:81]                                 // 00000000AEAC: D89A0000 00005014
	ds_write_b64 v20, v[84:85] offset:8704                     // 00000000AEB4: D89A2200 00005414
	ds_write_b64 v20, v[88:89] offset:2176                     // 00000000AEBC: D89A0880 00005814
	ds_write_b64 v20, v[92:93] offset:10880                    // 00000000AEC4: D89A2A80 00005C14
	ds_write_b64 v20, v[96:97] offset:4352                     // 00000000AECC: D89A1100 00006014
	ds_write_b64 v20, v[100:101] offset:13056                  // 00000000AED4: D89A3300 00006414
	ds_write_b64 v20, v[104:105] offset:6528                   // 00000000AEDC: D89A1980 00006814
	ds_write_b64 v20, v[108:109] offset:15232                  // 00000000AEE4: D89A3B80 00006C14
	s_waitcnt lgkmcnt(0)                                       // 00000000AEEC: BF8CC07F
	s_barrier                                                  // 00000000AEF0: BF8A0000
	ds_read_b32 v80, v21                                       // 00000000AEF4: D86C0000 50000015
	ds_read_b32 v81, v21 offset:64                             // 00000000AEFC: D86C0040 51000015
	ds_read_b32 v84, v21 offset:2176                           // 00000000AF04: D86C0880 54000015
	ds_read_b32 v85, v21 offset:2240                           // 00000000AF0C: D86C08C0 55000015
	ds_read_b32 v88, v21 offset:4352                           // 00000000AF14: D86C1100 58000015
	ds_read_b32 v89, v21 offset:4416                           // 00000000AF1C: D86C1140 59000015
	ds_read_b32 v92, v21 offset:6528                           // 00000000AF24: D86C1980 5C000015
	ds_read_b32 v93, v21 offset:6592                           // 00000000AF2C: D86C19C0 5D000015
	ds_read_b32 v96, v21 offset:8704                           // 00000000AF34: D86C2200 60000015
	ds_read_b32 v97, v21 offset:8768                           // 00000000AF3C: D86C2240 61000015
	ds_read_b32 v100, v21 offset:10880                         // 00000000AF44: D86C2A80 64000015
	ds_read_b32 v101, v21 offset:10944                         // 00000000AF4C: D86C2AC0 65000015
	ds_read_b32 v104, v21 offset:13056                         // 00000000AF54: D86C3300 68000015
	ds_read_b32 v105, v21 offset:13120                         // 00000000AF5C: D86C3340 69000015
	ds_read_b32 v108, v21 offset:15232                         // 00000000AF64: D86C3B80 6C000015
	ds_read_b32 v109, v21 offset:15296                         // 00000000AF6C: D86C3BC0 6D000015
	s_mul_i32 s60, s65, 4                                      // 00000000AF74: 923C8441
	s_add_u32 s8, s60, s8                                      // 00000000AF78: 8008083C
	s_addc_u32 s9, 0, s9                                       // 00000000AF7C: 82090980
	s_waitcnt lgkmcnt(0)                                       // 00000000AF80: BF8CC07F
	v_mov_b32_e32 v7, 0                                        // 00000000AF84: 7E0E0280
	s_mov_b64 exec, s[36:37]                                   // 00000000AF88: BEFE0124
	v_mov_b32_e32 v6, v38                                      // 00000000AF8C: 7E0C0326
	s_mov_b64 s[60:61], 0                                      // 00000000AF90: BEBC0180
	v_readlane_b32 s82, v3, 0                                  // 00000000AF94: D2890052 00010103
	s_and_b32 s82, s82, 0xffffff                               // 00000000AF9C: 8652FF52 00FFFFFF
	s_cmp_lt_u32 s82, s66                                      // 00000000AFA4: BF0A4252
	s_cselect_b32 s20, s36, s60                                // 00000000AFA8: 85143C24
	v_readlane_b32 s82, v3, 1                                  // 00000000AFAC: D2890052 00010303
	s_and_b32 s82, s82, 0xffffff                               // 00000000AFB4: 8652FF52 00FFFFFF
	s_cmp_lt_u32 s82, s66                                      // 00000000AFBC: BF0A4252
	s_cselect_b32 s21, s36, s60                                // 00000000AFC0: 85153C24
	s_mov_b64 exec, s[20:21]                                   // 00000000AFC4: BEFE0114
	global_atomic_add_f32 v6, v80, s[8:9]                      // 00000000AFC8: DD348000 00085006
	global_atomic_add_f32 v6, v84, s[8:9] offset:256           // 00000000AFD0: DD348100 00085406
	global_atomic_add_f32 v6, v88, s[8:9] offset:512           // 00000000AFD8: DD348200 00085806
	global_atomic_add_f32 v6, v92, s[8:9] offset:768           // 00000000AFE0: DD348300 00085C06
	s_mov_b64 exec, s[36:37]                                   // 00000000AFE8: BEFE0124
	v_mov_b32_e32 v6, v39                                      // 00000000AFEC: 7E0C0327
	s_mov_b64 s[60:61], 0                                      // 00000000AFF0: BEBC0180
	v_readlane_b32 s82, v3, 2                                  // 00000000AFF4: D2890052 00010503
	s_and_b32 s82, s82, 0xffffff                               // 00000000AFFC: 8652FF52 00FFFFFF
	s_cmp_lt_u32 s82, s66                                      // 00000000B004: BF0A4252
	s_cselect_b32 s20, s36, s60                                // 00000000B008: 85143C24
	v_readlane_b32 s82, v3, 3                                  // 00000000B00C: D2890052 00010703
	s_and_b32 s82, s82, 0xffffff                               // 00000000B014: 8652FF52 00FFFFFF
	s_cmp_lt_u32 s82, s66                                      // 00000000B01C: BF0A4252
	s_cselect_b32 s21, s36, s60                                // 00000000B020: 85153C24
	s_mov_b64 exec, s[20:21]                                   // 00000000B024: BEFE0114
	global_atomic_add_f32 v6, v81, s[8:9]                      // 00000000B028: DD348000 00085106
	global_atomic_add_f32 v6, v85, s[8:9] offset:256           // 00000000B030: DD348100 00085506
	global_atomic_add_f32 v6, v89, s[8:9] offset:512           // 00000000B038: DD348200 00085906
	global_atomic_add_f32 v6, v93, s[8:9] offset:768           // 00000000B040: DD348300 00085D06
	s_mov_b64 exec, s[36:37]                                   // 00000000B048: BEFE0124
	v_mov_b32_e32 v6, v40                                      // 00000000B04C: 7E0C0328
	s_mov_b64 s[60:61], 0                                      // 00000000B050: BEBC0180
	v_readlane_b32 s82, v3, 4                                  // 00000000B054: D2890052 00010903
	s_and_b32 s82, s82, 0xffffff                               // 00000000B05C: 8652FF52 00FFFFFF
	s_cmp_lt_u32 s82, s66                                      // 00000000B064: BF0A4252
	s_cselect_b32 s20, s36, s60                                // 00000000B068: 85143C24
	v_readlane_b32 s82, v3, 5                                  // 00000000B06C: D2890052 00010B03
	s_and_b32 s82, s82, 0xffffff                               // 00000000B074: 8652FF52 00FFFFFF
	s_cmp_lt_u32 s82, s66                                      // 00000000B07C: BF0A4252
	s_cselect_b32 s21, s36, s60                                // 00000000B080: 85153C24
	s_mov_b64 exec, s[20:21]                                   // 00000000B084: BEFE0114
	global_atomic_add_f32 v6, v96, s[8:9]                      // 00000000B088: DD348000 00086006
	global_atomic_add_f32 v6, v100, s[8:9] offset:256          // 00000000B090: DD348100 00086406
	global_atomic_add_f32 v6, v104, s[8:9] offset:512          // 00000000B098: DD348200 00086806
	global_atomic_add_f32 v6, v108, s[8:9] offset:768          // 00000000B0A0: DD348300 00086C06
	s_mov_b64 exec, s[36:37]                                   // 00000000B0A8: BEFE0124
	v_mov_b32_e32 v6, v41                                      // 00000000B0AC: 7E0C0329
	s_mov_b64 s[60:61], 0                                      // 00000000B0B0: BEBC0180
	v_readlane_b32 s82, v3, 6                                  // 00000000B0B4: D2890052 00010D03
	s_and_b32 s82, s82, 0xffffff                               // 00000000B0BC: 8652FF52 00FFFFFF
	s_cmp_lt_u32 s82, s66                                      // 00000000B0C4: BF0A4252
	s_cselect_b32 s20, s36, s60                                // 00000000B0C8: 85143C24
	v_readlane_b32 s82, v3, 7                                  // 00000000B0CC: D2890052 00010F03
	s_and_b32 s82, s82, 0xffffff                               // 00000000B0D4: 8652FF52 00FFFFFF
	s_cmp_lt_u32 s82, s66                                      // 00000000B0DC: BF0A4252
	s_cselect_b32 s21, s36, s60                                // 00000000B0E0: 85153C24
	s_mov_b64 exec, s[20:21]                                   // 00000000B0E4: BEFE0114
	global_atomic_add_f32 v6, v97, s[8:9]                      // 00000000B0E8: DD348000 00086106
	global_atomic_add_f32 v6, v101, s[8:9] offset:256          // 00000000B0F0: DD348100 00086506
	global_atomic_add_f32 v6, v105, s[8:9] offset:512          // 00000000B0F8: DD348200 00086906
	global_atomic_add_f32 v6, v109, s[8:9] offset:768          // 00000000B100: DD348300 00086D06
	s_mov_b64 exec, s[36:37]                                   // 00000000B108: BEFE0124
	ds_write_b64 v20, v[82:83]                                 // 00000000B10C: D89A0000 00005214
	ds_write_b64 v20, v[86:87] offset:8704                     // 00000000B114: D89A2200 00005614
	ds_write_b64 v20, v[90:91] offset:2176                     // 00000000B11C: D89A0880 00005A14
	ds_write_b64 v20, v[94:95] offset:10880                    // 00000000B124: D89A2A80 00005E14
	ds_write_b64 v20, v[98:99] offset:4352                     // 00000000B12C: D89A1100 00006214
	ds_write_b64 v20, v[102:103] offset:13056                  // 00000000B134: D89A3300 00006614
	ds_write_b64 v20, v[106:107] offset:6528                   // 00000000B13C: D89A1980 00006A14
	ds_write_b64 v20, v[110:111] offset:15232                  // 00000000B144: D89A3B80 00006E14
	s_waitcnt lgkmcnt(0)                                       // 00000000B14C: BF8CC07F
	s_barrier                                                  // 00000000B150: BF8A0000
	ds_read_b32 v82, v21                                       // 00000000B154: D86C0000 52000015
	ds_read_b32 v83, v21 offset:64                             // 00000000B15C: D86C0040 53000015
	ds_read_b32 v86, v21 offset:2176                           // 00000000B164: D86C0880 56000015
	ds_read_b32 v87, v21 offset:2240                           // 00000000B16C: D86C08C0 57000015
	ds_read_b32 v90, v21 offset:4352                           // 00000000B174: D86C1100 5A000015
	ds_read_b32 v91, v21 offset:4416                           // 00000000B17C: D86C1140 5B000015
	ds_read_b32 v94, v21 offset:6528                           // 00000000B184: D86C1980 5E000015
	ds_read_b32 v95, v21 offset:6592                           // 00000000B18C: D86C19C0 5F000015
	ds_read_b32 v98, v21 offset:8704                           // 00000000B194: D86C2200 62000015
	ds_read_b32 v99, v21 offset:8768                           // 00000000B19C: D86C2240 63000015
	ds_read_b32 v102, v21 offset:10880                         // 00000000B1A4: D86C2A80 66000015
	ds_read_b32 v103, v21 offset:10944                         // 00000000B1AC: D86C2AC0 67000015
	ds_read_b32 v106, v21 offset:13056                         // 00000000B1B4: D86C3300 6A000015
	ds_read_b32 v107, v21 offset:13120                         // 00000000B1BC: D86C3340 6B000015
	ds_read_b32 v110, v21 offset:15232                         // 00000000B1C4: D86C3B80 6E000015
	ds_read_b32 v111, v21 offset:15296                         // 00000000B1CC: D86C3BC0 6F000015
	s_waitcnt lgkmcnt(0)                                       // 00000000B1D4: BF8CC07F
	v_mov_b32_e32 v7, 0                                        // 00000000B1D8: 7E0E0280
	s_mov_b64 exec, s[36:37]                                   // 00000000B1DC: BEFE0124
	v_mov_b32_e32 v6, v38                                      // 00000000B1E0: 7E0C0326
	s_mov_b64 s[60:61], 0                                      // 00000000B1E4: BEBC0180
	v_readlane_b32 s82, v3, 0                                  // 00000000B1E8: D2890052 00010103
	s_and_b32 s82, s82, 0xffffff                               // 00000000B1F0: 8652FF52 00FFFFFF
	s_cmp_lt_u32 s82, s66                                      // 00000000B1F8: BF0A4252
	s_cselect_b32 s20, s36, s60                                // 00000000B1FC: 85143C24
	v_readlane_b32 s82, v3, 1                                  // 00000000B200: D2890052 00010303
	s_and_b32 s82, s82, 0xffffff                               // 00000000B208: 8652FF52 00FFFFFF
	s_cmp_lt_u32 s82, s66                                      // 00000000B210: BF0A4252
	s_cselect_b32 s21, s36, s60                                // 00000000B214: 85153C24
	s_mov_b64 exec, s[20:21]                                   // 00000000B218: BEFE0114
	global_atomic_add_f32 v6, v82, s[8:9] offset:8             // 00000000B21C: DD348008 00085206
	global_atomic_add_f32 v6, v86, s[8:9] offset:264           // 00000000B224: DD348108 00085606
	global_atomic_add_f32 v6, v90, s[8:9] offset:520           // 00000000B22C: DD348208 00085A06
	global_atomic_add_f32 v6, v94, s[8:9] offset:776           // 00000000B234: DD348308 00085E06
	s_mov_b64 exec, s[36:37]                                   // 00000000B23C: BEFE0124
	v_mov_b32_e32 v6, v39                                      // 00000000B240: 7E0C0327
	s_mov_b64 s[60:61], 0                                      // 00000000B244: BEBC0180
	v_readlane_b32 s82, v3, 2                                  // 00000000B248: D2890052 00010503
	s_and_b32 s82, s82, 0xffffff                               // 00000000B250: 8652FF52 00FFFFFF
	s_cmp_lt_u32 s82, s66                                      // 00000000B258: BF0A4252
	s_cselect_b32 s20, s36, s60                                // 00000000B25C: 85143C24
	v_readlane_b32 s82, v3, 3                                  // 00000000B260: D2890052 00010703
	s_and_b32 s82, s82, 0xffffff                               // 00000000B268: 8652FF52 00FFFFFF
	s_cmp_lt_u32 s82, s66                                      // 00000000B270: BF0A4252
	s_cselect_b32 s21, s36, s60                                // 00000000B274: 85153C24
	s_mov_b64 exec, s[20:21]                                   // 00000000B278: BEFE0114
	global_atomic_add_f32 v6, v83, s[8:9] offset:8             // 00000000B27C: DD348008 00085306
	global_atomic_add_f32 v6, v87, s[8:9] offset:264           // 00000000B284: DD348108 00085706
	global_atomic_add_f32 v6, v91, s[8:9] offset:520           // 00000000B28C: DD348208 00085B06
	global_atomic_add_f32 v6, v95, s[8:9] offset:776           // 00000000B294: DD348308 00085F06
	s_mov_b64 exec, s[36:37]                                   // 00000000B29C: BEFE0124
	v_mov_b32_e32 v6, v40                                      // 00000000B2A0: 7E0C0328
	s_mov_b64 s[60:61], 0                                      // 00000000B2A4: BEBC0180
	v_readlane_b32 s82, v3, 4                                  // 00000000B2A8: D2890052 00010903
	s_and_b32 s82, s82, 0xffffff                               // 00000000B2B0: 8652FF52 00FFFFFF
	s_cmp_lt_u32 s82, s66                                      // 00000000B2B8: BF0A4252
	s_cselect_b32 s20, s36, s60                                // 00000000B2BC: 85143C24
	v_readlane_b32 s82, v3, 5                                  // 00000000B2C0: D2890052 00010B03
	s_and_b32 s82, s82, 0xffffff                               // 00000000B2C8: 8652FF52 00FFFFFF
	s_cmp_lt_u32 s82, s66                                      // 00000000B2D0: BF0A4252
	s_cselect_b32 s21, s36, s60                                // 00000000B2D4: 85153C24
	s_mov_b64 exec, s[20:21]                                   // 00000000B2D8: BEFE0114
	global_atomic_add_f32 v6, v98, s[8:9] offset:8             // 00000000B2DC: DD348008 00086206
	global_atomic_add_f32 v6, v102, s[8:9] offset:264          // 00000000B2E4: DD348108 00086606
	global_atomic_add_f32 v6, v106, s[8:9] offset:520          // 00000000B2EC: DD348208 00086A06
	global_atomic_add_f32 v6, v110, s[8:9] offset:776          // 00000000B2F4: DD348308 00086E06
	s_mov_b64 exec, s[36:37]                                   // 00000000B2FC: BEFE0124
	v_mov_b32_e32 v6, v41                                      // 00000000B300: 7E0C0329
	s_mov_b64 s[60:61], 0                                      // 00000000B304: BEBC0180
	v_readlane_b32 s82, v3, 6                                  // 00000000B308: D2890052 00010D03
	s_and_b32 s82, s82, 0xffffff                               // 00000000B310: 8652FF52 00FFFFFF
	s_cmp_lt_u32 s82, s66                                      // 00000000B318: BF0A4252
	s_cselect_b32 s20, s36, s60                                // 00000000B31C: 85143C24
	v_readlane_b32 s82, v3, 7                                  // 00000000B320: D2890052 00010F03
	s_and_b32 s82, s82, 0xffffff                               // 00000000B328: 8652FF52 00FFFFFF
	s_cmp_lt_u32 s82, s66                                      // 00000000B330: BF0A4252
	s_cselect_b32 s21, s36, s60                                // 00000000B334: 85153C24
	s_mov_b64 exec, s[20:21]                                   // 00000000B338: BEFE0114
	global_atomic_add_f32 v6, v99, s[8:9] offset:8             // 00000000B33C: DD348008 00086306
	global_atomic_add_f32 v6, v103, s[8:9] offset:264          // 00000000B344: DD348108 00086706
	global_atomic_add_f32 v6, v107, s[8:9] offset:520          // 00000000B34C: DD348208 00086B06
	global_atomic_add_f32 v6, v111, s[8:9] offset:776          // 00000000B354: DD348308 00086F06
	s_mov_b64 exec, s[36:37]                                   // 00000000B35C: BEFE0124
	s_branch label_225C                                        // 00000000B360: BF820000

000000000000b364 <label_225C>:
	s_waitcnt vmcnt(0) expcnt(0) lgkmcnt(0)                    // 00000000B364: BF8C0000
	s_endpgm                                                   // 00000000B368: BF810000
